;; amdgpu-corpus repo=ROCm/rocFFT kind=compiled arch=gfx1030 opt=O3
	.text
	.amdgcn_target "amdgcn-amd-amdhsa--gfx1030"
	.amdhsa_code_object_version 6
	.protected	bluestein_single_fwd_len1925_dim1_dp_op_CI_CI ; -- Begin function bluestein_single_fwd_len1925_dim1_dp_op_CI_CI
	.globl	bluestein_single_fwd_len1925_dim1_dp_op_CI_CI
	.p2align	8
	.type	bluestein_single_fwd_len1925_dim1_dp_op_CI_CI,@function
bluestein_single_fwd_len1925_dim1_dp_op_CI_CI: ; @bluestein_single_fwd_len1925_dim1_dp_op_CI_CI
; %bb.0:
	s_load_dwordx4 s[16:19], s[4:5], 0x28
	v_mul_u32_u24_e32 v1, 0x4a8, v0
	s_mov_b64 s[42:43], s[2:3]
	s_mov_b64 s[40:41], s[0:1]
	v_mov_b32_e32 v5, 0
	s_add_u32 s40, s40, s7
	v_lshrrev_b32_e32 v1, 16, v1
	s_addc_u32 s41, s41, 0
	s_mov_b32 s0, exec_lo
	v_add_nc_u32_e32 v4, s6, v1
	s_waitcnt lgkmcnt(0)
	v_cmpx_gt_u64_e64 s[16:17], v[4:5]
	s_cbranch_execz .LBB0_10
; %bb.1:
	s_clause 0x1
	s_load_dwordx4 s[0:3], s[4:5], 0x18
	s_load_dwordx4 s[12:15], s[4:5], 0x0
	v_mul_lo_u16 v1, v1, 55
	v_mov_b32_e32 v5, v4
	s_mov_b32 s24, 0xe976ee23
	s_mov_b32 s28, 0xaaaaaaaa
	;; [unrolled: 1-line block ×3, first 2 shown]
	v_sub_nc_u16 v140, v0, v1
	s_mov_b32 s16, 0xb247c609
	s_mov_b32 s25, 0xbfe11646
	;; [unrolled: 1-line block ×4, first 2 shown]
	v_and_b32_e32 v178, 0xffff, v140
	s_mov_b32 s21, 0xbfe77f67
	s_mov_b32 s17, 0x3fd5d0dc
	;; [unrolled: 1-line block ×4, first 2 shown]
	v_lshlrev_b32_e32 v230, 4, v178
	s_mov_b32 s20, s26
	s_waitcnt lgkmcnt(0)
	s_load_dwordx4 s[8:11], s[0:1], 0x0
	buffer_store_dword v5, off, s[40:43], 0 offset:324 ; 4-byte Folded Spill
	buffer_store_dword v6, off, s[40:43], 0 offset:328 ; 4-byte Folded Spill
	global_load_dwordx4 v[24:27], v230, s[12:13]
	v_add_co_u32 v92, s0, s12, v230
	v_add_co_ci_u32_e64 v93, null, s13, 0, s0
	v_add_co_u32 v18, s0, 0x2000, v92
	s_waitcnt lgkmcnt(0)
	v_mad_u64_u32 v[0:1], null, s10, v4, 0
	v_mad_u64_u32 v[2:3], null, s8, v178, 0
	s_mul_i32 s1, s9, 0x1130
	s_mul_hi_u32 s7, s8, 0x1130
	s_mul_i32 s6, s8, 0x1130
	s_add_i32 s1, s7, s1
	s_mul_i32 s7, s8, 0xffff9c50
	v_mad_u64_u32 v[4:5], null, s11, v4, v[1:2]
	v_mad_u64_u32 v[5:6], null, s9, v178, v[3:4]
	v_mov_b32_e32 v1, v4
	s_mulk_i32 s9, 0x9c50
	v_lshlrev_b64 v[0:1], 4, v[0:1]
	v_mov_b32_e32 v3, v5
	v_add_co_u32 v0, vcc_lo, s18, v0
	v_lshlrev_b64 v[2:3], 4, v[2:3]
	v_add_co_ci_u32_e32 v1, vcc_lo, s19, v1, vcc_lo
	s_mov_b32 s18, 0x37e14327
	s_mov_b32 s19, 0x3fe948f6
	v_add_co_u32 v4, vcc_lo, v0, v2
	v_add_co_ci_u32_e32 v5, vcc_lo, v1, v3, vcc_lo
	v_add_co_u32 v16, vcc_lo, 0x1000, v92
	v_add_co_ci_u32_e32 v17, vcc_lo, 0, v93, vcc_lo
	global_load_dwordx4 v[0:3], v[4:5], off
	v_add_co_u32 v4, vcc_lo, v4, s6
	v_add_co_ci_u32_e32 v5, vcc_lo, s1, v5, vcc_lo
	v_add_co_ci_u32_e64 v19, vcc_lo, 0, v93, s0
	v_add_co_u32 v12, vcc_lo, v4, s6
	v_add_co_ci_u32_e32 v13, vcc_lo, s1, v5, vcc_lo
	v_add_co_u32 v90, vcc_lo, 0x3000, v92
	v_add_co_u32 v88, s0, 0x4000, v92
	v_add_co_ci_u32_e32 v91, vcc_lo, 0, v93, vcc_lo
	v_add_co_ci_u32_e64 v89, vcc_lo, 0, v93, s0
	global_load_dwordx4 v[110:113], v[16:17], off offset:304
	global_load_dwordx4 v[4:7], v[4:5], off
	global_load_dwordx4 v[76:79], v[18:19], off offset:608
	global_load_dwordx4 v[8:11], v[12:13], off
	v_add_co_u32 v12, vcc_lo, v12, s6
	v_add_co_ci_u32_e32 v13, vcc_lo, s1, v13, vcc_lo
	v_add_co_u32 v84, s0, 0x6000, v92
	v_add_co_u32 v20, vcc_lo, v12, s6
	v_add_co_ci_u32_e32 v21, vcc_lo, s1, v13, vcc_lo
	v_add_co_u32 v86, vcc_lo, 0x5000, v92
	v_add_co_ci_u32_e32 v87, vcc_lo, 0, v93, vcc_lo
	v_add_co_ci_u32_e64 v85, vcc_lo, 0, v93, s0
	global_load_dwordx4 v[68:71], v[90:91], off offset:912
	global_load_dwordx4 v[12:15], v[12:13], off
	global_load_dwordx4 v[72:75], v[88:89], off offset:1216
	global_load_dwordx4 v[32:35], v[20:21], off
	v_add_co_u32 v20, vcc_lo, v20, s6
	v_add_co_ci_u32_e32 v21, vcc_lo, s1, v21, vcc_lo
	s_mul_hi_u32 s0, s8, 0xffff9c50
	v_add_co_u32 v22, vcc_lo, v20, s6
	v_add_co_ci_u32_e32 v23, vcc_lo, s1, v21, vcc_lo
	s_sub_i32 s0, s0, s8
	global_load_dwordx4 v[80:83], v[86:87], off offset:1520
	global_load_dwordx4 v[46:49], v[20:21], off
	global_load_dwordx4 v[64:67], v[84:85], off offset:1824
	global_load_dwordx4 v[50:53], v[22:23], off
	s_add_i32 s0, s0, s9
	v_add_co_u32 v20, vcc_lo, v22, s7
	v_add_co_ci_u32_e32 v21, vcc_lo, s0, v23, vcc_lo
	global_load_dwordx4 v[102:105], v230, s[12:13] offset:880
	v_add_co_u32 v22, vcc_lo, v20, s6
	v_add_co_ci_u32_e32 v23, vcc_lo, s1, v21, vcc_lo
	global_load_dwordx4 v[54:57], v[20:21], off
	global_load_dwordx4 v[98:101], v[16:17], off offset:1184
	global_load_dwordx4 v[58:61], v[22:23], off
	v_add_co_u32 v16, vcc_lo, v22, s6
	v_add_co_ci_u32_e32 v17, vcc_lo, s1, v23, vcc_lo
	global_load_dwordx4 v[106:109], v[18:19], off offset:1488
	v_add_co_u32 v44, vcc_lo, v16, s6
	v_add_co_ci_u32_e32 v45, vcc_lo, s1, v17, vcc_lo
	global_load_dwordx4 v[40:43], v[16:17], off
	global_load_dwordx4 v[94:97], v[90:91], off offset:1792
	global_load_dwordx4 v[36:39], v[44:45], off
	s_waitcnt vmcnt(20)
	v_mul_f64 v[16:17], v[2:3], v[26:27]
	v_mul_f64 v[18:19], v[0:1], v[26:27]
	s_waitcnt vmcnt(18)
	v_mul_f64 v[20:21], v[6:7], v[112:113]
	v_mul_f64 v[22:23], v[4:5], v[112:113]
	s_waitcnt vmcnt(16)
	v_mul_f64 v[62:63], v[10:11], v[78:79]
	v_fma_f64 v[28:29], v[0:1], v[24:25], v[16:17]
	buffer_store_dword v24, off, s[40:43], 0 offset:332 ; 4-byte Folded Spill
	buffer_store_dword v25, off, s[40:43], 0 offset:336 ; 4-byte Folded Spill
	;; [unrolled: 1-line block ×4, first 2 shown]
	v_mul_f64 v[0:1], v[8:9], v[78:79]
	v_fma_f64 v[30:31], v[2:3], v[24:25], -v[18:19]
	v_fma_f64 v[24:25], v[4:5], v[110:111], v[20:21]
	buffer_store_dword v110, off, s[40:43], 0 offset:308 ; 4-byte Folded Spill
	buffer_store_dword v111, off, s[40:43], 0 offset:312 ; 4-byte Folded Spill
	;; [unrolled: 1-line block ×4, first 2 shown]
	v_fma_f64 v[20:21], v[8:9], v[76:77], v[62:63]
	buffer_store_dword v76, off, s[40:43], 0 offset:212 ; 4-byte Folded Spill
	buffer_store_dword v77, off, s[40:43], 0 offset:216 ; 4-byte Folded Spill
	;; [unrolled: 1-line block ×4, first 2 shown]
	s_waitcnt vmcnt(14)
	v_mul_f64 v[2:3], v[14:15], v[70:71]
	v_mul_f64 v[4:5], v[12:13], v[70:71]
	s_waitcnt vmcnt(10)
	v_mul_f64 v[8:9], v[48:49], v[82:83]
	v_fma_f64 v[16:17], v[12:13], v[68:69], v[2:3]
	buffer_store_dword v68, off, s[40:43], 0 offset:180 ; 4-byte Folded Spill
	buffer_store_dword v69, off, s[40:43], 0 offset:184 ; 4-byte Folded Spill
	;; [unrolled: 1-line block ×4, first 2 shown]
	v_mul_f64 v[2:3], v[46:47], v[82:83]
	v_fma_f64 v[8:9], v[46:47], v[80:81], v[8:9]
	s_waitcnt vmcnt(0)
	v_mul_f64 v[46:47], v[38:39], v[96:97]
	v_fma_f64 v[26:27], v[6:7], v[110:111], -v[22:23]
	v_mul_f64 v[6:7], v[34:35], v[74:75]
	v_fma_f64 v[22:23], v[10:11], v[76:77], -v[0:1]
	v_mul_f64 v[0:1], v[32:33], v[74:75]
	v_add_co_u32 v110, vcc_lo, 0x4800, v92
	v_add_co_ci_u32_e32 v111, vcc_lo, 0, v93, vcc_lo
	v_fma_f64 v[12:13], v[32:33], v[72:73], v[6:7]
	buffer_store_dword v72, off, s[40:43], 0 offset:196 ; 4-byte Folded Spill
	buffer_store_dword v73, off, s[40:43], 0 offset:200 ; 4-byte Folded Spill
	;; [unrolled: 1-line block ×8, first 2 shown]
	v_fma_f64 v[18:19], v[14:15], v[68:69], -v[4:5]
	v_mul_f64 v[4:5], v[52:53], v[66:67]
	v_mul_f64 v[32:33], v[56:57], v[104:105]
	v_fma_f64 v[4:5], v[50:51], v[64:65], v[4:5]
	v_fma_f64 v[14:15], v[34:35], v[72:73], -v[0:1]
	v_mul_f64 v[0:1], v[50:51], v[66:67]
	buffer_store_dword v64, off, s[40:43], 0 offset:164 ; 4-byte Folded Spill
	buffer_store_dword v65, off, s[40:43], 0 offset:168 ; 4-byte Folded Spill
	;; [unrolled: 1-line block ×4, first 2 shown]
	v_mul_f64 v[34:35], v[60:61], v[100:101]
	v_fma_f64 v[10:11], v[48:49], v[80:81], -v[2:3]
	v_mul_f64 v[2:3], v[54:55], v[104:105]
	v_mul_f64 v[48:49], v[58:59], v[100:101]
	;; [unrolled: 1-line block ×3, first 2 shown]
	v_fma_f64 v[6:7], v[52:53], v[64:65], -v[0:1]
	v_fma_f64 v[0:1], v[54:55], v[102:103], v[32:33]
	buffer_store_dword v102, off, s[40:43], 0 offset:276 ; 4-byte Folded Spill
	buffer_store_dword v103, off, s[40:43], 0 offset:280 ; 4-byte Folded Spill
	buffer_store_dword v104, off, s[40:43], 0 offset:284 ; 4-byte Folded Spill
	buffer_store_dword v105, off, s[40:43], 0 offset:288 ; 4-byte Folded Spill
	v_fma_f64 v[32:33], v[58:59], v[98:99], v[34:35]
	buffer_store_dword v98, off, s[40:43], 0 offset:260 ; 4-byte Folded Spill
	buffer_store_dword v99, off, s[40:43], 0 offset:264 ; 4-byte Folded Spill
	;; [unrolled: 1-line block ×4, first 2 shown]
	v_add_co_u32 v54, vcc_lo, v44, s6
	v_add_co_ci_u32_e32 v55, vcc_lo, s1, v45, vcc_lo
	v_mul_f64 v[52:53], v[40:41], v[108:109]
	v_fma_f64 v[40:41], v[40:41], v[106:107], v[50:51]
	buffer_store_dword v106, off, s[40:43], 0 offset:292 ; 4-byte Folded Spill
	buffer_store_dword v107, off, s[40:43], 0 offset:296 ; 4-byte Folded Spill
	;; [unrolled: 1-line block ×4, first 2 shown]
	v_fma_f64 v[2:3], v[56:57], v[102:103], -v[2:3]
	global_load_dwordx4 v[56:59], v[110:111], off offset:48
	v_fma_f64 v[34:35], v[60:61], v[98:99], -v[48:49]
	v_mul_f64 v[48:49], v[36:37], v[96:97]
	v_fma_f64 v[36:37], v[36:37], v[94:95], v[46:47]
	buffer_store_dword v94, off, s[40:43], 0 offset:244 ; 4-byte Folded Spill
	buffer_store_dword v95, off, s[40:43], 0 offset:248 ; 4-byte Folded Spill
	;; [unrolled: 1-line block ×4, first 2 shown]
	global_load_dwordx4 v[44:47], v[54:55], off
	v_fma_f64 v[42:43], v[42:43], v[106:107], -v[52:53]
	v_add_co_u32 v52, vcc_lo, v54, s6
	v_add_co_ci_u32_e32 v53, vcc_lo, s1, v55, vcc_lo
	v_add_co_u32 v76, vcc_lo, 0x5800, v92
	v_add_co_ci_u32_e32 v77, vcc_lo, 0, v93, vcc_lo
	v_fma_f64 v[38:39], v[38:39], v[94:95], -v[48:49]
	s_waitcnt vmcnt(0)
	v_mul_f64 v[48:49], v[46:47], v[58:59]
	v_mul_f64 v[50:51], v[44:45], v[58:59]
	v_fma_f64 v[44:45], v[44:45], v[56:57], v[48:49]
	buffer_store_dword v56, off, s[40:43], 0 offset:348 ; 4-byte Folded Spill
	buffer_store_dword v57, off, s[40:43], 0 offset:352 ; 4-byte Folded Spill
	;; [unrolled: 1-line block ×4, first 2 shown]
	v_fma_f64 v[46:47], v[46:47], v[56:57], -v[50:51]
	global_load_dwordx4 v[58:61], v[76:77], off offset:352
	global_load_dwordx4 v[48:51], v[52:53], off
	s_waitcnt vmcnt(0)
	v_mul_f64 v[54:55], v[50:51], v[60:61]
	v_mul_f64 v[56:57], v[48:49], v[60:61]
	v_fma_f64 v[48:49], v[48:49], v[58:59], v[54:55]
	buffer_store_dword v58, off, s[40:43], 0 offset:364 ; 4-byte Folded Spill
	buffer_store_dword v59, off, s[40:43], 0 offset:368 ; 4-byte Folded Spill
	;; [unrolled: 1-line block ×4, first 2 shown]
	v_fma_f64 v[50:51], v[50:51], v[58:59], -v[56:57]
	v_add_co_u32 v56, vcc_lo, v52, s6
	v_add_co_ci_u32_e32 v57, vcc_lo, s1, v53, vcc_lo
	v_add_co_u32 v80, vcc_lo, 0x6800, v92
	v_add_co_ci_u32_e32 v81, vcc_lo, 0, v93, vcc_lo
	global_load_dwordx4 v[62:65], v[80:81], off offset:656
	global_load_dwordx4 v[52:55], v[56:57], off
	s_waitcnt vmcnt(0)
	v_mul_f64 v[58:59], v[54:55], v[64:65]
	v_mul_f64 v[60:61], v[52:53], v[64:65]
	v_fma_f64 v[52:53], v[52:53], v[62:63], v[58:59]
	buffer_store_dword v62, off, s[40:43], 0 offset:396 ; 4-byte Folded Spill
	buffer_store_dword v63, off, s[40:43], 0 offset:400 ; 4-byte Folded Spill
	;; [unrolled: 1-line block ×4, first 2 shown]
	v_fma_f64 v[54:55], v[54:55], v[62:63], -v[60:61]
	v_add_co_u32 v60, vcc_lo, v56, s7
	v_add_co_ci_u32_e32 v61, vcc_lo, s0, v57, vcc_lo
	global_load_dwordx4 v[66:69], v230, s[12:13] offset:1760
	global_load_dwordx4 v[56:59], v[60:61], off
	s_waitcnt vmcnt(0)
	v_mul_f64 v[62:63], v[58:59], v[68:69]
	v_mul_f64 v[64:65], v[56:57], v[68:69]
	v_fma_f64 v[56:57], v[56:57], v[66:67], v[62:63]
	buffer_store_dword v66, off, s[40:43], 0 offset:380 ; 4-byte Folded Spill
	buffer_store_dword v67, off, s[40:43], 0 offset:384 ; 4-byte Folded Spill
	buffer_store_dword v68, off, s[40:43], 0 offset:388 ; 4-byte Folded Spill
	buffer_store_dword v69, off, s[40:43], 0 offset:392 ; 4-byte Folded Spill
	v_fma_f64 v[58:59], v[58:59], v[66:67], -v[64:65]
	v_add_co_u32 v64, vcc_lo, v60, s6
	v_add_co_ci_u32_e32 v65, vcc_lo, s1, v61, vcc_lo
	v_add_co_u32 v126, vcc_lo, 0x1800, v92
	v_add_co_ci_u32_e32 v127, vcc_lo, 0, v93, vcc_lo
	global_load_dwordx4 v[70:73], v[126:127], off offset:16
	global_load_dwordx4 v[60:63], v[64:65], off
	s_waitcnt vmcnt(0)
	v_mul_f64 v[66:67], v[62:63], v[72:73]
	v_mul_f64 v[68:69], v[60:61], v[72:73]
	v_fma_f64 v[60:61], v[60:61], v[70:71], v[66:67]
	buffer_store_dword v70, off, s[40:43], 0 offset:412 ; 4-byte Folded Spill
	buffer_store_dword v71, off, s[40:43], 0 offset:416 ; 4-byte Folded Spill
	buffer_store_dword v72, off, s[40:43], 0 offset:420 ; 4-byte Folded Spill
	buffer_store_dword v73, off, s[40:43], 0 offset:424 ; 4-byte Folded Spill
	v_fma_f64 v[62:63], v[62:63], v[70:71], -v[68:69]
	v_add_co_u32 v68, vcc_lo, v64, s6
	v_add_co_ci_u32_e32 v69, vcc_lo, s1, v65, vcc_lo
	v_add_co_u32 v102, vcc_lo, 0x2800, v92
	v_add_co_ci_u32_e32 v103, vcc_lo, 0, v93, vcc_lo
	global_load_dwordx4 v[94:97], v[102:103], off offset:320
	;; [unrolled: 15-line block ×3, first 2 shown]
	global_load_dwordx4 v[68:71], v[72:73], off
	s_waitcnt vmcnt(0)
	v_mul_f64 v[74:75], v[70:71], v[96:97]
	v_mul_f64 v[78:79], v[68:69], v[96:97]
	v_fma_f64 v[68:69], v[68:69], v[94:95], v[74:75]
	buffer_store_dword v94, off, s[40:43], 0 offset:476 ; 4-byte Folded Spill
	buffer_store_dword v95, off, s[40:43], 0 offset:480 ; 4-byte Folded Spill
	;; [unrolled: 1-line block ×4, first 2 shown]
	v_fma_f64 v[70:71], v[70:71], v[94:95], -v[78:79]
	v_add_co_u32 v78, vcc_lo, v72, s6
	v_add_co_ci_u32_e32 v79, vcc_lo, s1, v73, vcc_lo
	global_load_dwordx4 v[96:99], v[110:111], off offset:928
	global_load_dwordx4 v[72:75], v[78:79], off
	s_waitcnt vmcnt(0)
	v_mul_f64 v[82:83], v[74:75], v[98:99]
	v_mul_f64 v[94:95], v[72:73], v[98:99]
	v_fma_f64 v[72:73], v[72:73], v[96:97], v[82:83]
	v_add_co_u32 v82, vcc_lo, v78, s6
	v_add_co_ci_u32_e32 v83, vcc_lo, s1, v79, vcc_lo
	buffer_store_dword v96, off, s[40:43], 0 offset:492 ; 4-byte Folded Spill
	buffer_store_dword v97, off, s[40:43], 0 offset:496 ; 4-byte Folded Spill
	;; [unrolled: 1-line block ×4, first 2 shown]
	global_load_dwordx4 v[98:101], v[76:77], off offset:1232
	global_load_dwordx4 v[76:79], v[82:83], off
	v_fma_f64 v[74:75], v[74:75], v[96:97], -v[94:95]
	s_waitcnt vmcnt(0)
	v_mul_f64 v[94:95], v[78:79], v[100:101]
	v_mul_f64 v[96:97], v[76:77], v[100:101]
	v_fma_f64 v[76:77], v[76:77], v[98:99], v[94:95]
	v_add_co_u32 v94, vcc_lo, v82, s6
	v_add_co_ci_u32_e32 v95, vcc_lo, s1, v83, vcc_lo
	buffer_store_dword v98, off, s[40:43], 0 offset:444 ; 4-byte Folded Spill
	buffer_store_dword v99, off, s[40:43], 0 offset:448 ; 4-byte Folded Spill
	;; [unrolled: 1-line block ×4, first 2 shown]
	global_load_dwordx4 v[112:115], v[80:81], off offset:1536
	global_load_dwordx4 v[80:83], v[94:95], off
	v_fma_f64 v[78:79], v[78:79], v[98:99], -v[96:97]
	s_waitcnt vmcnt(0)
	v_mul_f64 v[96:97], v[82:83], v[114:115]
	v_mul_f64 v[98:99], v[80:81], v[114:115]
	v_fma_f64 v[80:81], v[80:81], v[112:113], v[96:97]
	buffer_store_dword v112, off, s[40:43], 0 offset:460 ; 4-byte Folded Spill
	buffer_store_dword v113, off, s[40:43], 0 offset:464 ; 4-byte Folded Spill
	;; [unrolled: 1-line block ×4, first 2 shown]
	v_fma_f64 v[82:83], v[82:83], v[112:113], -v[98:99]
	v_add_co_u32 v98, vcc_lo, v94, s7
	v_add_co_ci_u32_e32 v99, vcc_lo, s0, v95, vcc_lo
	v_add_co_u32 v122, vcc_lo, 0x800, v92
	v_add_co_ci_u32_e32 v123, vcc_lo, 0, v93, vcc_lo
	global_load_dwordx4 v[112:115], v[122:123], off offset:592
	global_load_dwordx4 v[94:97], v[98:99], off
	s_waitcnt vmcnt(0)
	v_mul_f64 v[100:101], v[96:97], v[114:115]
	v_mul_f64 v[104:105], v[94:95], v[114:115]
	v_fma_f64 v[94:95], v[94:95], v[112:113], v[100:101]
	buffer_store_dword v112, off, s[40:43], 0 offset:540 ; 4-byte Folded Spill
	buffer_store_dword v113, off, s[40:43], 0 offset:544 ; 4-byte Folded Spill
	;; [unrolled: 1-line block ×4, first 2 shown]
	v_fma_f64 v[96:97], v[96:97], v[112:113], -v[104:105]
	v_add_co_u32 v104, vcc_lo, v98, s6
	v_add_co_ci_u32_e32 v105, vcc_lo, s1, v99, vcc_lo
	global_load_dwordx4 v[114:117], v[126:127], off offset:896
	global_load_dwordx4 v[98:101], v[104:105], off
	s_waitcnt vmcnt(0)
	v_mul_f64 v[108:109], v[100:101], v[116:117]
	v_mul_f64 v[112:113], v[98:99], v[116:117]
	v_fma_f64 v[98:99], v[98:99], v[114:115], v[108:109]
	v_add_co_u32 v108, vcc_lo, v104, s6
	v_add_co_ci_u32_e32 v109, vcc_lo, s1, v105, vcc_lo
	buffer_store_dword v114, off, s[40:43], 0 offset:556 ; 4-byte Folded Spill
	buffer_store_dword v115, off, s[40:43], 0 offset:560 ; 4-byte Folded Spill
	buffer_store_dword v116, off, s[40:43], 0 offset:564 ; 4-byte Folded Spill
	buffer_store_dword v117, off, s[40:43], 0 offset:568 ; 4-byte Folded Spill
	global_load_dwordx4 v[116:119], v[102:103], off offset:1200
	global_load_dwordx4 v[102:105], v[108:109], off
	v_fma_f64 v[100:101], v[100:101], v[114:115], -v[112:113]
	s_waitcnt vmcnt(0)
	v_mul_f64 v[112:113], v[104:105], v[118:119]
	v_mul_f64 v[114:115], v[102:103], v[118:119]
	v_fma_f64 v[102:103], v[102:103], v[116:117], v[112:113]
	v_add_co_u32 v112, vcc_lo, v108, s6
	v_add_co_ci_u32_e32 v113, vcc_lo, s1, v109, vcc_lo
	buffer_store_dword v116, off, s[40:43], 0 offset:572 ; 4-byte Folded Spill
	buffer_store_dword v117, off, s[40:43], 0 offset:576 ; 4-byte Folded Spill
	buffer_store_dword v118, off, s[40:43], 0 offset:580 ; 4-byte Folded Spill
	buffer_store_dword v119, off, s[40:43], 0 offset:584 ; 4-byte Folded Spill
	global_load_dwordx4 v[118:121], v[106:107], off offset:1504
	global_load_dwordx4 v[106:109], v[112:113], off
	v_fma_f64 v[104:105], v[104:105], v[116:117], -v[114:115]
	s_waitcnt vmcnt(0)
	v_mul_f64 v[114:115], v[108:109], v[120:121]
	v_mul_f64 v[116:117], v[106:107], v[120:121]
	v_fma_f64 v[106:107], v[106:107], v[118:119], v[114:115]
	v_add_co_u32 v114, vcc_lo, v112, s6
	v_add_co_ci_u32_e32 v115, vcc_lo, s1, v113, vcc_lo
	buffer_store_dword v118, off, s[40:43], 0 offset:588 ; 4-byte Folded Spill
	buffer_store_dword v119, off, s[40:43], 0 offset:592 ; 4-byte Folded Spill
	buffer_store_dword v120, off, s[40:43], 0 offset:596 ; 4-byte Folded Spill
	buffer_store_dword v121, off, s[40:43], 0 offset:600 ; 4-byte Folded Spill
	global_load_dwordx4 v[128:131], v[110:111], off offset:1808
	global_load_dwordx4 v[110:113], v[114:115], off
	v_fma_f64 v[108:109], v[108:109], v[118:119], -v[116:117]
	s_waitcnt vmcnt(0)
	v_mul_f64 v[116:117], v[112:113], v[130:131]
	v_mul_f64 v[118:119], v[110:111], v[130:131]
	v_fma_f64 v[110:111], v[110:111], v[128:129], v[116:117]
	buffer_store_dword v128, off, s[40:43], 0 offset:508 ; 4-byte Folded Spill
	buffer_store_dword v129, off, s[40:43], 0 offset:512 ; 4-byte Folded Spill
	buffer_store_dword v130, off, s[40:43], 0 offset:516 ; 4-byte Folded Spill
	buffer_store_dword v131, off, s[40:43], 0 offset:520 ; 4-byte Folded Spill
	v_fma_f64 v[112:113], v[112:113], v[128:129], -v[118:119]
	v_add_co_u32 v118, vcc_lo, v114, s6
	v_add_co_ci_u32_e32 v119, vcc_lo, s1, v115, vcc_lo
	global_load_dwordx4 v[128:131], v[84:85], off offset:64
	global_load_dwordx4 v[114:117], v[118:119], off
	s_waitcnt vmcnt(0)
	v_mul_f64 v[120:121], v[116:117], v[130:131]
	v_mul_f64 v[124:125], v[114:115], v[130:131]
	v_fma_f64 v[114:115], v[114:115], v[128:129], v[120:121]
	buffer_store_dword v128, off, s[40:43], 0 offset:524 ; 4-byte Folded Spill
	buffer_store_dword v129, off, s[40:43], 0 offset:528 ; 4-byte Folded Spill
	;; [unrolled: 1-line block ×4, first 2 shown]
	v_fma_f64 v[116:117], v[116:117], v[128:129], -v[124:125]
	v_add_co_u32 v124, vcc_lo, v118, s6
	v_add_co_ci_u32_e32 v125, vcc_lo, s1, v119, vcc_lo
	v_add_co_u32 v138, vcc_lo, 0x7000, v92
	v_add_co_ci_u32_e32 v139, vcc_lo, 0, v93, vcc_lo
	global_load_dwordx4 v[130:133], v[138:139], off offset:368
	global_load_dwordx4 v[118:121], v[124:125], off
	s_waitcnt vmcnt(0)
	v_mul_f64 v[92:93], v[120:121], v[132:133]
	v_mul_f64 v[128:129], v[118:119], v[132:133]
	v_fma_f64 v[118:119], v[118:119], v[130:131], v[92:93]
	v_add_co_u32 v92, vcc_lo, v124, s7
	v_add_co_ci_u32_e32 v93, vcc_lo, s0, v125, vcc_lo
	buffer_store_dword v130, off, s[40:43], 0 offset:604 ; 4-byte Folded Spill
	buffer_store_dword v131, off, s[40:43], 0 offset:608 ; 4-byte Folded Spill
	;; [unrolled: 1-line block ×4, first 2 shown]
	global_load_dwordx4 v[132:135], v[122:123], off offset:1472
	global_load_dwordx4 v[122:125], v[92:93], off
	v_add_co_u32 v92, vcc_lo, v92, s6
	v_add_co_ci_u32_e32 v93, vcc_lo, s1, v93, vcc_lo
	v_fma_f64 v[120:121], v[120:121], v[130:131], -v[128:129]
	s_waitcnt vmcnt(0)
	v_mul_f64 v[128:129], v[124:125], v[134:135]
	v_mul_f64 v[130:131], v[122:123], v[134:135]
	v_fma_f64 v[122:123], v[122:123], v[132:133], v[128:129]
	buffer_store_dword v132, off, s[40:43], 0 offset:636 ; 4-byte Folded Spill
	buffer_store_dword v133, off, s[40:43], 0 offset:640 ; 4-byte Folded Spill
	buffer_store_dword v134, off, s[40:43], 0 offset:644 ; 4-byte Folded Spill
	buffer_store_dword v135, off, s[40:43], 0 offset:648 ; 4-byte Folded Spill
	global_load_dwordx4 v[134:137], v[126:127], off offset:1776
	global_load_dwordx4 v[126:129], v[92:93], off
	v_fma_f64 v[124:125], v[124:125], v[132:133], -v[130:131]
	s_waitcnt vmcnt(0)
	v_mul_f64 v[130:131], v[128:129], v[136:137]
	v_mul_f64 v[132:133], v[126:127], v[136:137]
	v_fma_f64 v[126:127], v[126:127], v[134:135], v[130:131]
	v_add_co_u32 v130, vcc_lo, v92, s6
	v_add_co_ci_u32_e32 v131, vcc_lo, s1, v93, vcc_lo
	buffer_store_dword v134, off, s[40:43], 0 offset:620 ; 4-byte Folded Spill
	buffer_store_dword v135, off, s[40:43], 0 offset:624 ; 4-byte Folded Spill
	;; [unrolled: 1-line block ×4, first 2 shown]
	global_load_dwordx4 v[141:144], v[90:91], off offset:32
	global_load_dwordx4 v[90:93], v[130:131], off
	v_fma_f64 v[128:129], v[128:129], v[134:135], -v[132:133]
	s_waitcnt vmcnt(0)
	v_mul_f64 v[132:133], v[92:93], v[143:144]
	v_mul_f64 v[134:135], v[90:91], v[143:144]
	v_fma_f64 v[90:91], v[90:91], v[141:142], v[132:133]
	buffer_store_dword v141, off, s[40:43], 0 offset:652 ; 4-byte Folded Spill
	buffer_store_dword v142, off, s[40:43], 0 offset:656 ; 4-byte Folded Spill
	;; [unrolled: 1-line block ×4, first 2 shown]
	v_fma_f64 v[92:93], v[92:93], v[141:142], -v[134:135]
	v_add_co_u32 v134, vcc_lo, v130, s6
	v_add_co_ci_u32_e32 v135, vcc_lo, s1, v131, vcc_lo
	global_load_dwordx4 v[141:144], v[88:89], off offset:336
	global_load_dwordx4 v[130:133], v[134:135], off
	v_add_co_u32 v134, vcc_lo, v134, s6
	v_add_co_ci_u32_e32 v135, vcc_lo, s1, v135, vcc_lo
	s_waitcnt vmcnt(0)
	v_mul_f64 v[88:89], v[132:133], v[143:144]
	v_mul_f64 v[136:137], v[130:131], v[143:144]
	v_fma_f64 v[130:131], v[130:131], v[141:142], v[88:89]
	buffer_store_dword v141, off, s[40:43], 0 offset:668 ; 4-byte Folded Spill
	buffer_store_dword v142, off, s[40:43], 0 offset:672 ; 4-byte Folded Spill
	;; [unrolled: 1-line block ×4, first 2 shown]
	global_load_dwordx4 v[143:146], v[86:87], off offset:640
	global_load_dwordx4 v[86:89], v[134:135], off
	v_fma_f64 v[132:133], v[132:133], v[141:142], -v[136:137]
	s_waitcnt vmcnt(0)
	v_mul_f64 v[136:137], v[88:89], v[145:146]
	v_mul_f64 v[141:142], v[86:87], v[145:146]
	v_fma_f64 v[86:87], v[86:87], v[143:144], v[136:137]
	buffer_store_dword v143, off, s[40:43], 0 offset:684 ; 4-byte Folded Spill
	buffer_store_dword v144, off, s[40:43], 0 offset:688 ; 4-byte Folded Spill
	;; [unrolled: 1-line block ×4, first 2 shown]
	v_fma_f64 v[88:89], v[88:89], v[143:144], -v[141:142]
	v_add_co_u32 v141, vcc_lo, v134, s6
	v_add_co_ci_u32_e32 v142, vcc_lo, s1, v135, vcc_lo
	global_load_dwordx4 v[145:148], v[84:85], off offset:944
	global_load_dwordx4 v[134:137], v[141:142], off
	s_waitcnt vmcnt(0)
	v_mul_f64 v[84:85], v[136:137], v[147:148]
	v_mul_f64 v[143:144], v[134:135], v[147:148]
	v_fma_f64 v[134:135], v[134:135], v[145:146], v[84:85]
	buffer_store_dword v145, off, s[40:43], 0 offset:700 ; 4-byte Folded Spill
	buffer_store_dword v146, off, s[40:43], 0 offset:704 ; 4-byte Folded Spill
	;; [unrolled: 1-line block ×4, first 2 shown]
	v_add_co_u32 v84, vcc_lo, v141, s6
	v_add_co_ci_u32_e32 v85, vcc_lo, s1, v142, vcc_lo
	s_mov_b32 s6, 0x429ad128
	s_mov_b32 s7, 0x3febfeb5
	;; [unrolled: 1-line block ×4, first 2 shown]
	v_cmp_gt_u16_e32 vcc_lo, 10, v140
	v_fma_f64 v[136:137], v[136:137], v[145:146], -v[143:144]
	global_load_dwordx4 v[145:148], v[138:139], off offset:1248
	global_load_dwordx4 v[141:144], v[84:85], off
	s_waitcnt vmcnt(0)
	v_mul_f64 v[84:85], v[143:144], v[147:148]
	v_mul_f64 v[138:139], v[141:142], v[147:148]
	v_fma_f64 v[141:142], v[141:142], v[145:146], v[84:85]
	buffer_store_dword v145, off, s[40:43], 0 offset:716 ; 4-byte Folded Spill
	buffer_store_dword v146, off, s[40:43], 0 offset:720 ; 4-byte Folded Spill
	;; [unrolled: 1-line block ×4, first 2 shown]
	v_fma_f64 v[143:144], v[143:144], v[145:146], -v[138:139]
	ds_write_b128 v230, v[28:31]
	ds_write_b128 v230, v[24:27] offset:4400
	ds_write_b128 v230, v[20:23] offset:8800
	;; [unrolled: 1-line block ×34, first 2 shown]
	s_load_dwordx4 s[8:11], s[2:3], 0x0
	s_waitcnt lgkmcnt(0)
	s_waitcnt_vscnt null, 0x0
	s_barrier
	buffer_gl0_inv
	ds_read_b128 v[0:3], v230 offset:4400
	ds_read_b128 v[4:7], v230 offset:26400
	s_mov_b32 s2, 0x36b3c0b5
	s_mov_b32 s3, 0x3fac98ee
	s_waitcnt lgkmcnt(0)
	v_add_f64 v[28:29], v[0:1], v[4:5]
	v_add_f64 v[30:31], v[2:3], v[6:7]
	v_add_f64 v[32:33], v[0:1], -v[4:5]
	v_add_f64 v[34:35], v[2:3], -v[6:7]
	ds_read_b128 v[0:3], v230 offset:22000
	ds_read_b128 v[4:7], v230 offset:8800
	s_waitcnt lgkmcnt(0)
	v_add_f64 v[26:27], v[4:5], v[0:1]
	v_add_f64 v[24:25], v[6:7], v[2:3]
	v_add_f64 v[22:23], v[4:5], -v[0:1]
	v_add_f64 v[20:21], v[6:7], -v[2:3]
	ds_read_b128 v[0:3], v230 offset:13200
	ds_read_b128 v[4:7], v230 offset:17600
	v_add_f64 v[145:146], v[26:27], -v[28:29]
	v_add_f64 v[149:150], v[24:25], -v[30:31]
	s_waitcnt lgkmcnt(0)
	v_add_f64 v[36:37], v[0:1], v[4:5]
	v_add_f64 v[38:39], v[2:3], v[6:7]
	v_add_f64 v[40:41], v[4:5], -v[0:1]
	v_add_f64 v[42:43], v[6:7], -v[2:3]
	ds_read_b128 v[0:3], v230 offset:27280
	ds_read_b128 v[4:7], v230 offset:5280
	v_add_f64 v[153:154], v[22:23], -v[32:33]
	v_add_f64 v[157:158], v[20:21], -v[34:35]
	;; [unrolled: 1-line block ×4, first 2 shown]
	s_waitcnt lgkmcnt(0)
	v_add_f64 v[52:53], v[4:5], v[0:1]
	v_add_f64 v[54:55], v[6:7], v[2:3]
	v_add_f64 v[56:57], v[4:5], -v[0:1]
	v_add_f64 v[58:59], v[6:7], -v[2:3]
	ds_read_b128 v[0:3], v230 offset:9680
	ds_read_b128 v[4:7], v230 offset:22880
	v_add_f64 v[155:156], v[42:43], -v[20:21]
	s_waitcnt lgkmcnt(0)
	v_add_f64 v[70:71], v[0:1], v[4:5]
	v_add_f64 v[68:69], v[2:3], v[6:7]
	v_add_f64 v[46:47], v[0:1], -v[4:5]
	v_add_f64 v[44:45], v[2:3], -v[6:7]
	ds_read_b128 v[0:3], v230 offset:18480
	ds_read_b128 v[4:7], v230 offset:14080
	v_mul_f64 v[155:156], v[155:156], s[24:25]
	s_waitcnt lgkmcnt(0)
	v_add_f64 v[60:61], v[4:5], v[0:1]
	v_add_f64 v[62:63], v[6:7], v[2:3]
	v_add_f64 v[64:65], v[0:1], -v[4:5]
	v_add_f64 v[66:67], v[2:3], -v[6:7]
	ds_read_b128 v[0:3], v230 offset:6160
	ds_read_b128 v[4:7], v230 offset:28160
	s_waitcnt lgkmcnt(0)
	v_add_f64 v[76:77], v[0:1], v[4:5]
	v_add_f64 v[78:79], v[2:3], v[6:7]
	v_add_f64 v[80:81], v[0:1], -v[4:5]
	v_add_f64 v[82:83], v[2:3], -v[6:7]
	ds_read_b128 v[0:3], v230 offset:23760
	ds_read_b128 v[4:7], v230 offset:10560
	;; [unrolled: 7-line block ×9, first 2 shown]
	s_waitcnt lgkmcnt(0)
	v_add_f64 v[120:121], v[12:13], v[8:9]
	v_add_f64 v[124:125], v[8:9], -v[12:13]
	v_add_f64 v[8:9], v[26:27], v[28:29]
	v_add_f64 v[26:27], v[40:41], -v[22:23]
	v_add_f64 v[28:29], v[28:29], -v[36:37]
	v_add_f64 v[122:123], v[14:15], v[10:11]
	v_add_f64 v[126:127], v[10:11], -v[14:15]
	v_add_f64 v[48:49], v[36:37], v[8:9]
	v_add_f64 v[8:9], v[24:25], v[30:31]
	;; [unrolled: 1-line block ×4, first 2 shown]
	v_add_f64 v[30:31], v[30:31], -v[38:39]
	v_mul_f64 v[36:37], v[153:154], s[6:7]
	v_mul_f64 v[163:164], v[26:27], s[24:25]
	;; [unrolled: 1-line block ×3, first 2 shown]
	v_add_f64 v[50:51], v[38:39], v[8:9]
	ds_read_b128 v[8:11], v230
	v_add_f64 v[159:160], v[24:25], v[32:33]
	v_add_f64 v[161:162], v[22:23], v[34:35]
	v_add_f64 v[32:33], v[32:33], -v[40:41]
	v_add_f64 v[34:35], v[34:35], -v[42:43]
	v_mul_f64 v[38:39], v[157:158], s[6:7]
	v_mul_f64 v[40:41], v[28:29], s[18:19]
	;; [unrolled: 1-line block ×4, first 2 shown]
	v_fma_f64 v[20:21], v[145:146], s[26:27], -v[20:21]
	v_fma_f64 v[24:25], v[153:154], s[6:7], -v[163:164]
	v_add_f64 v[153:154], v[44:45], -v[58:59]
	s_waitcnt lgkmcnt(0)
	v_add_f64 v[16:17], v[8:9], v[48:49]
	v_add_f64 v[18:19], v[10:11], v[50:51]
	v_add_f64 v[8:9], v[70:71], v[52:53]
	v_fma_f64 v[28:29], v[32:33], s[22:23], -v[36:37]
	v_fma_f64 v[32:33], v[32:33], s[16:17], v[163:164]
	v_fma_f64 v[30:31], v[34:35], s[22:23], -v[38:39]
	v_fma_f64 v[36:37], v[145:146], s[20:21], -v[40:41]
	v_fma_f64 v[38:39], v[149:150], s[20:21], -v[42:43]
	v_fma_f64 v[22:23], v[149:150], s[26:27], -v[22:23]
	v_fma_f64 v[34:35], v[34:35], s[16:17], v[155:156]
	v_fma_f64 v[40:41], v[147:148], s[2:3], v[40:41]
	;; [unrolled: 1-line block ×3, first 2 shown]
	v_add_f64 v[147:148], v[68:69], -v[54:55]
	v_add_f64 v[151:152], v[66:67], -v[44:45]
	v_fma_f64 v[165:166], v[159:160], s[0:1], v[24:25]
	v_fma_f64 v[24:25], v[157:158], s[6:7], -v[155:156]
	v_fma_f64 v[48:49], v[48:49], s[28:29], v[16:17]
	v_fma_f64 v[50:51], v[50:51], s[28:29], v[18:19]
	v_add_f64 v[136:137], v[60:61], v[8:9]
	v_add_f64 v[8:9], v[68:69], v[54:55]
	v_add_f64 v[54:55], v[54:55], -v[62:63]
	v_fma_f64 v[145:146], v[159:160], s[0:1], v[28:29]
	v_add_f64 v[68:69], v[62:63], -v[68:69]
	v_fma_f64 v[28:29], v[161:162], s[0:1], v[30:31]
	v_mul_f64 v[151:152], v[151:152], s[24:25]
	v_fma_f64 v[167:168], v[161:162], s[0:1], v[24:25]
	v_add_f64 v[30:31], v[36:37], v[48:49]
	v_add_f64 v[149:150], v[38:39], v[50:51]
	;; [unrolled: 1-line block ×5, first 2 shown]
	ds_read_b128 v[8:11], v230 offset:880
	v_add_f64 v[62:63], v[58:59], -v[66:67]
	v_add_f64 v[36:37], v[30:31], v[28:29]
	v_add_f64 v[38:39], v[149:150], -v[145:146]
	v_add_f64 v[28:29], v[30:31], -v[28:29]
	v_add_f64 v[30:31], v[145:146], v[149:150]
	v_fma_f64 v[145:146], v[159:160], s[0:1], v[32:33]
	v_fma_f64 v[32:33], v[161:162], s[0:1], v[34:35]
	v_add_f64 v[34:35], v[40:41], v[48:49]
	v_add_f64 v[40:41], v[42:43], v[50:51]
	v_add_f64 v[42:43], v[64:65], -v[46:47]
	v_add_f64 v[149:150], v[46:47], -v[56:57]
	s_waitcnt lgkmcnt(0)
	v_add_f64 v[12:13], v[8:9], v[136:137]
	v_add_f64 v[14:15], v[10:11], v[138:139]
	;; [unrolled: 1-line block ×4, first 2 shown]
	v_add_f64 v[22:23], v[22:23], -v[165:166]
	v_add_f64 v[24:25], v[20:21], -v[167:168]
	v_add_f64 v[20:21], v[20:21], v[167:168]
	v_add_f64 v[48:49], v[34:35], v[32:33]
	v_add_f64 v[50:51], v[40:41], -v[145:146]
	v_add_f64 v[32:33], v[34:35], -v[32:33]
	v_add_f64 v[34:35], v[145:146], v[40:41]
	v_add_f64 v[145:146], v[70:71], -v[52:53]
	v_add_f64 v[40:41], v[64:65], v[46:47]
	v_add_f64 v[46:47], v[66:67], v[44:45]
	v_add_f64 v[52:53], v[52:53], -v[60:61]
	v_add_f64 v[70:71], v[60:61], -v[70:71]
	v_mul_f64 v[159:160], v[42:43], s[24:25]
	v_add_f64 v[60:61], v[56:57], -v[64:65]
	v_mul_f64 v[66:67], v[54:55], s[18:19]
	v_mul_f64 v[42:43], v[68:69], s[2:3]
	v_fma_f64 v[136:137], v[136:137], s[28:29], v[12:13]
	v_fma_f64 v[138:139], v[138:139], s[28:29], v[14:15]
	v_add_f64 v[141:142], v[88:89], v[8:9]
	v_add_f64 v[8:9], v[74:75], v[78:79]
	;; [unrolled: 1-line block ×4, first 2 shown]
	v_mul_f64 v[56:57], v[149:150], s[6:7]
	v_mul_f64 v[58:59], v[153:154], s[6:7]
	;; [unrolled: 1-line block ×4, first 2 shown]
	v_fma_f64 v[44:45], v[149:150], s[6:7], -v[159:160]
	v_fma_f64 v[42:43], v[147:148], s[26:27], -v[42:43]
	v_add_f64 v[143:144], v[90:91], v[8:9]
	ds_read_b128 v[8:11], v230 offset:1760
	v_fma_f64 v[52:53], v[60:61], s[22:23], -v[56:57]
	v_fma_f64 v[54:55], v[62:63], s[22:23], -v[58:59]
	v_fma_f64 v[56:57], v[145:146], s[20:21], -v[64:65]
	v_fma_f64 v[58:59], v[147:148], s[20:21], -v[66:67]
	v_fma_f64 v[60:61], v[60:61], s[16:17], v[159:160]
	v_fma_f64 v[62:63], v[62:63], s[16:17], v[151:152]
	;; [unrolled: 1-line block ×4, first 2 shown]
	v_fma_f64 v[40:41], v[145:146], s[26:27], -v[40:41]
	s_waitcnt lgkmcnt(0)
	v_add_f64 v[10:11], v[10:11], v[143:144]
	v_fma_f64 v[46:47], v[155:156], s[0:1], v[44:45]
	v_fma_f64 v[44:45], v[153:154], s[6:7], -v[151:152]
	v_add_f64 v[163:164], v[42:43], v[138:139]
	v_add_f64 v[8:9], v[8:9], v[141:142]
	v_fma_f64 v[145:146], v[155:156], s[0:1], v[52:53]
	v_fma_f64 v[52:53], v[157:158], s[0:1], v[54:55]
	v_add_f64 v[54:55], v[56:57], v[136:137]
	v_add_f64 v[147:148], v[58:59], v[138:139]
	v_fma_f64 v[68:69], v[155:156], s[0:1], v[60:61]
	v_fma_f64 v[60:61], v[157:158], s[0:1], v[62:63]
	v_add_f64 v[62:63], v[64:65], v[136:137]
	v_add_f64 v[70:71], v[66:67], v[138:139]
	;; [unrolled: 1-line block ×3, first 2 shown]
	v_add_f64 v[136:137], v[72:73], -v[76:77]
	v_add_f64 v[138:139], v[88:89], -v[72:73]
	v_add_f64 v[72:73], v[94:95], v[86:87]
	v_add_f64 v[76:77], v[76:77], -v[88:89]
	v_add_f64 v[88:89], v[80:81], -v[92:93]
	v_fma_f64 v[143:144], v[143:144], s[28:29], v[10:11]
	v_fma_f64 v[141:142], v[141:142], s[28:29], v[8:9]
	v_fma_f64 v[44:45], v[157:158], s[0:1], v[44:45]
	v_add_f64 v[42:43], v[46:47], v[163:164]
	v_add_f64 v[46:47], v[163:164], -v[46:47]
	v_add_f64 v[56:57], v[54:55], v[52:53]
	v_add_f64 v[58:59], v[147:148], -v[145:146]
	v_add_f64 v[52:53], v[54:55], -v[52:53]
	v_add_f64 v[54:55], v[145:146], v[147:148]
	v_add_f64 v[64:65], v[62:63], v[60:61]
	v_add_f64 v[66:67], v[70:71], -v[68:69]
	v_add_f64 v[60:61], v[62:63], -v[60:61]
	v_add_f64 v[62:63], v[68:69], v[70:71]
	v_add_f64 v[145:146], v[74:75], -v[78:79]
	v_add_f64 v[68:69], v[92:93], v[84:85]
	v_add_f64 v[70:71], v[92:93], -v[84:85]
	v_add_f64 v[84:85], v[84:85], -v[80:81]
	v_add_f64 v[78:79], v[78:79], -v[90:91]
	v_add_f64 v[147:148], v[90:91], -v[74:75]
	v_add_f64 v[74:75], v[94:95], -v[86:87]
	v_add_f64 v[90:91], v[82:83], -v[94:95]
	v_add_f64 v[86:87], v[86:87], -v[82:83]
	v_add_f64 v[151:152], v[72:73], v[82:83]
	v_mul_f64 v[92:93], v[76:77], s[18:19]
	v_add_f64 v[40:41], v[161:162], -v[44:45]
	v_add_f64 v[44:45], v[161:162], v[44:45]
	v_add_f64 v[149:150], v[68:69], v[80:81]
	v_mul_f64 v[153:154], v[70:71], s[24:25]
	v_mul_f64 v[68:69], v[138:139], s[2:3]
	;; [unrolled: 1-line block ×7, first 2 shown]
	v_fma_f64 v[80:81], v[136:137], s[20:21], -v[92:93]
	v_fma_f64 v[72:73], v[84:85], s[6:7], -v[153:154]
	;; [unrolled: 1-line block ×5, first 2 shown]
	v_fma_f64 v[88:89], v[88:89], s[16:17], v[153:154]
	v_fma_f64 v[70:71], v[145:146], s[26:27], -v[70:71]
	v_fma_f64 v[76:77], v[90:91], s[22:23], -v[76:77]
	v_fma_f64 v[90:91], v[90:91], s[16:17], v[155:156]
	v_add_f64 v[84:85], v[80:81], v[141:142]
	v_add_f64 v[145:146], v[98:99], -v[106:107]
	v_add_f64 v[153:154], v[116:117], v[100:101]
	v_fma_f64 v[74:75], v[149:150], s[0:1], v[72:73]
	v_fma_f64 v[72:73], v[86:87], s[6:7], -v[155:156]
	v_add_f64 v[86:87], v[82:83], v[143:144]
	v_fma_f64 v[78:79], v[149:150], s[0:1], v[78:79]
	v_fma_f64 v[88:89], v[149:150], s[0:1], v[88:89]
	v_add_f64 v[157:158], v[68:69], v[141:142]
	v_fma_f64 v[76:77], v[151:152], s[0:1], v[76:77]
	v_fma_f64 v[90:91], v[151:152], s[0:1], v[90:91]
	v_add_f64 v[149:150], v[102:103], -v[110:111]
	v_add_f64 v[159:160], v[70:71], v[143:144]
	v_add_f64 v[155:156], v[116:117], -v[100:101]
	v_add_f64 v[153:154], v[153:154], v[108:109]
	v_fma_f64 v[72:73], v[151:152], s[0:1], v[72:73]
	v_add_f64 v[82:83], v[86:87], -v[78:79]
	v_add_f64 v[78:79], v[78:79], v[86:87]
	v_fma_f64 v[86:87], v[147:148], s[2:3], v[94:95]
	v_add_f64 v[80:81], v[84:85], v[76:77]
	v_add_f64 v[76:77], v[84:85], -v[76:77]
	v_fma_f64 v[84:85], v[138:139], s[2:3], v[92:93]
	v_add_f64 v[147:148], v[114:115], -v[98:99]
	v_add_f64 v[70:71], v[74:75], v[159:160]
	v_add_f64 v[74:75], v[159:160], -v[74:75]
	v_mul_f64 v[155:156], v[155:156], s[24:25]
	v_add_f64 v[68:69], v[157:158], -v[72:73]
	v_add_f64 v[72:73], v[157:158], v[72:73]
	v_add_f64 v[157:158], v[100:101], -v[108:109]
	v_add_f64 v[86:87], v[86:87], v[143:144]
	;; [unrolled: 2-line block ×3, first 2 shown]
	v_add_f64 v[141:142], v[96:97], -v[104:105]
	v_add_f64 v[94:95], v[86:87], -v[88:89]
	v_add_f64 v[86:87], v[88:89], v[86:87]
	v_add_f64 v[88:89], v[96:97], v[104:105]
	v_add_f64 v[104:105], v[104:105], -v[112:113]
	v_add_f64 v[92:93], v[84:85], v[90:91]
	v_add_f64 v[84:85], v[84:85], -v[90:91]
	v_add_f64 v[96:97], v[118:119], -v[102:103]
	v_add_f64 v[136:137], v[112:113], v[88:89]
	v_add_f64 v[88:89], v[98:99], v[106:107]
	;; [unrolled: 1-line block ×3, first 2 shown]
	v_add_f64 v[106:107], v[106:107], -v[114:115]
	v_add_f64 v[112:113], v[108:109], -v[116:117]
	v_mul_f64 v[116:117], v[104:105], s[18:19]
	v_mul_f64 v[104:105], v[149:150], s[6:7]
	;; [unrolled: 1-line block ×5, first 2 shown]
	v_add_f64 v[138:139], v[114:115], v[88:89]
	ds_read_b128 v[88:91], v230 offset:2640
	v_add_f64 v[114:115], v[110:111], -v[118:119]
	v_add_f64 v[159:160], v[98:99], v[110:111]
	v_mul_f64 v[118:119], v[106:107], s[18:19]
	v_mul_f64 v[106:107], v[157:158], s[6:7]
	v_fma_f64 v[108:109], v[141:142], s[20:21], -v[116:117]
	v_fma_f64 v[96:97], v[141:142], s[26:27], -v[96:97]
	v_fma_f64 v[116:117], v[143:144], s[2:3], v[116:117]
	v_fma_f64 v[102:103], v[145:146], s[26:27], -v[102:103]
	s_waitcnt lgkmcnt(0)
	v_add_f64 v[88:89], v[88:89], v[136:137]
	v_add_f64 v[90:91], v[90:91], v[138:139]
	v_fma_f64 v[104:105], v[114:115], s[22:23], -v[104:105]
	v_fma_f64 v[114:115], v[114:115], s[16:17], v[151:152]
	v_fma_f64 v[110:111], v[145:146], s[20:21], -v[118:119]
	v_fma_f64 v[106:107], v[112:113], s[22:23], -v[106:107]
	v_fma_f64 v[118:119], v[147:148], s[2:3], v[118:119]
	v_fma_f64 v[112:113], v[112:113], s[16:17], v[155:156]
	v_add_f64 v[147:148], v[120:121], -v[134:135]
	v_fma_f64 v[136:137], v[136:137], s[28:29], v[88:89]
	v_fma_f64 v[138:139], v[138:139], s[28:29], v[90:91]
	v_fma_f64 v[104:105], v[159:160], s[0:1], v[104:105]
	v_fma_f64 v[114:115], v[159:160], s[0:1], v[114:115]
	v_fma_f64 v[106:107], v[153:154], s[0:1], v[106:107]
	v_add_f64 v[141:142], v[108:109], v[136:137]
	v_add_f64 v[100:101], v[96:97], v[136:137]
	v_fma_f64 v[96:97], v[149:150], s[6:7], -v[151:152]
	v_add_f64 v[136:137], v[116:117], v[136:137]
	v_add_f64 v[102:103], v[102:103], v[138:139]
	v_add_f64 v[145:146], v[110:111], v[138:139]
	v_add_f64 v[138:139], v[118:119], v[138:139]
	v_add_f64 v[149:150], v[132:133], -v[2:3]
	v_add_f64 v[151:152], v[122:123], -v[132:133]
	v_add_f64 v[108:109], v[141:142], v[104:105]
	v_add_f64 v[104:105], v[141:142], -v[104:105]
	v_fma_f64 v[141:142], v[153:154], s[0:1], v[112:113]
	v_fma_f64 v[161:162], v[159:160], s[0:1], v[96:97]
	v_fma_f64 v[96:97], v[157:158], s[6:7], -v[155:156]
	v_add_f64 v[116:117], v[136:137], v[114:115]
	v_add_f64 v[112:113], v[136:137], -v[114:115]
	v_add_f64 v[136:137], v[134:135], v[0:1]
	v_add_f64 v[110:111], v[145:146], -v[106:107]
	;; [unrolled: 2-line block ×3, first 2 shown]
	v_add_f64 v[134:135], v[126:127], v[130:131]
	v_add_f64 v[157:158], v[124:125], v[128:129]
	v_add_f64 v[0:1], v[0:1], -v[120:121]
	v_add_f64 v[159:160], v[124:125], -v[128:129]
	;; [unrolled: 1-line block ×3, first 2 shown]
	v_add_f64 v[114:115], v[141:142], v[138:139]
	v_add_f64 v[138:139], v[132:133], v[2:3]
	v_fma_f64 v[163:164], v[153:154], s[0:1], v[96:97]
	v_add_f64 v[132:133], v[126:127], -v[130:131]
	v_add_f64 v[136:137], v[120:121], v[136:137]
	v_add_f64 v[153:154], v[130:131], -v[6:7]
	ds_read_b128 v[141:144], v230 offset:3520
	v_add_f64 v[96:97], v[100:101], -v[161:162]
	v_add_f64 v[100:101], v[100:101], v[161:162]
	v_mul_f64 v[130:131], v[147:148], s[2:3]
	v_add_f64 v[161:162], v[128:129], -v[4:5]
	v_add_f64 v[157:158], v[157:158], v[4:5]
	v_add_f64 v[2:3], v[2:3], -v[122:123]
	v_add_f64 v[4:5], v[4:5], -v[124:125]
	v_mul_f64 v[124:125], v[0:1], s[18:19]
	v_mul_f64 v[159:160], v[159:160], s[24:25]
	s_waitcnt lgkmcnt(0)
	s_barrier
	buffer_gl0_inv
	v_add_f64 v[138:139], v[122:123], v[138:139]
	v_add_f64 v[98:99], v[163:164], v[102:103]
	v_add_f64 v[102:103], v[102:103], -v[163:164]
	v_add_f64 v[141:142], v[141:142], v[136:137]
	v_mul_f64 v[155:156], v[132:133], s[24:25]
	v_add_f64 v[163:164], v[134:135], v[6:7]
	v_add_f64 v[6:7], v[6:7], -v[126:127]
	v_mul_f64 v[0:1], v[153:154], s[6:7]
	v_mul_f64 v[132:133], v[151:152], s[2:3]
	v_fma_f64 v[130:131], v[145:146], s[26:27], -v[130:131]
	v_mul_f64 v[126:127], v[2:3], s[18:19]
	v_mul_f64 v[2:3], v[161:162], s[6:7]
	v_fma_f64 v[120:121], v[145:146], s[20:21], -v[124:125]
	v_fma_f64 v[124:125], v[147:148], s[2:3], v[124:125]
	v_add_f64 v[143:144], v[143:144], v[138:139]
	v_fma_f64 v[136:137], v[136:137], s[28:29], v[141:142]
	v_fma_f64 v[128:129], v[153:154], s[6:7], -v[155:156]
	v_fma_f64 v[0:1], v[6:7], s[22:23], -v[0:1]
	v_fma_f64 v[6:7], v[6:7], s[16:17], v[155:156]
	v_fma_f64 v[132:133], v[149:150], s[26:27], -v[132:133]
	v_fma_f64 v[122:123], v[149:150], s[20:21], -v[126:127]
	;; [unrolled: 1-line block ×3, first 2 shown]
	v_fma_f64 v[4:5], v[4:5], s[16:17], v[159:160]
	v_fma_f64 v[126:127], v[151:152], s[2:3], v[126:127]
	s_load_dwordx2 s[2:3], s[4:5], 0x38
	v_fma_f64 v[138:139], v[138:139], s[28:29], v[143:144]
	v_add_f64 v[134:135], v[130:131], v[136:137]
	v_add_f64 v[145:146], v[120:121], v[136:137]
	v_add_f64 v[136:137], v[124:125], v[136:137]
	v_fma_f64 v[0:1], v[163:164], s[0:1], v[0:1]
	v_fma_f64 v[6:7], v[163:164], s[0:1], v[6:7]
	;; [unrolled: 1-line block ×3, first 2 shown]
	v_add_f64 v[165:166], v[132:133], v[138:139]
	v_fma_f64 v[132:133], v[163:164], s[0:1], v[128:129]
	v_fma_f64 v[128:129], v[161:162], s[6:7], -v[159:160]
	v_add_f64 v[149:150], v[122:123], v[138:139]
	v_add_f64 v[138:139], v[126:127], v[138:139]
	;; [unrolled: 1-line block ×3, first 2 shown]
	v_add_f64 v[0:1], v[145:146], -v[0:1]
	v_fma_f64 v[145:146], v[157:158], s[0:1], v[4:5]
	v_add_f64 v[124:125], v[136:137], v[6:7]
	v_add_f64 v[4:5], v[136:137], -v[6:7]
	v_mul_lo_u16 v136, v140, 7
	v_mov_b32_e32 v137, 4
	v_lshlrev_b32_sdwa v136, v137, v136 dst_sel:DWORD dst_unused:UNUSED_PAD src0_sel:DWORD src1_sel:WORD_0
	ds_write_b128 v136, v[16:19]
	ds_write_b128 v136, v[48:51] offset:16
	ds_write_b128 v136, v[36:39] offset:32
	ds_write_b128 v136, v[24:27] offset:48
	ds_write_b128 v136, v[20:23] offset:64
	ds_write_b128 v136, v[28:31] offset:80
	v_fma_f64 v[167:168], v[157:158], s[0:1], v[128:129]
	v_add_co_u32 v196, s0, v178, 55
	v_add_co_u32 v195, s1, 0x6e, v178
	buffer_store_dword v136, off, s[40:43], 0 offset:1248 ; 4-byte Folded Spill
	v_mul_u32_u24_e32 v16, 7, v196
	ds_write_b128 v136, v[32:35] offset:96
	v_add_f64 v[122:123], v[149:150], -v[2:3]
	v_add_f64 v[2:3], v[2:3], v[149:150]
	v_add_f64 v[6:7], v[145:146], v[138:139]
	v_lshlrev_b32_e32 v16, 4, v16
	ds_write_b128 v16, v[12:15]
	ds_write_b128 v16, v[64:67] offset:16
	ds_write_b128 v16, v[56:59] offset:32
	;; [unrolled: 1-line block ×5, first 2 shown]
	v_mul_u32_u24_e32 v12, 7, v195
	buffer_store_dword v16, off, s[40:43], 0 offset:1244 ; 4-byte Folded Spill
	ds_write_b128 v16, v[60:63] offset:96
	v_add_f64 v[126:127], v[138:139], -v[145:146]
	v_add_f64 v[128:129], v[134:135], -v[132:133]
	v_lshlrev_b32_e32 v12, 4, v12
	ds_write_b128 v12, v[8:11]
	ds_write_b128 v12, v[92:95] offset:16
	ds_write_b128 v12, v[80:83] offset:32
	;; [unrolled: 1-line block ×5, first 2 shown]
	v_add_co_u32 v8, null, 0xa5, v178
	v_add_f64 v[130:131], v[167:168], v[165:166]
	v_add_f64 v[132:133], v[134:135], v[132:133]
	v_add_f64 v[134:135], v[165:166], -v[167:168]
	buffer_store_dword v8, off, s[40:43], 0 offset:4 ; 4-byte Folded Spill
	v_mul_u32_u24_e32 v8, 7, v8
	buffer_store_dword v12, off, s[40:43], 0 offset:1192 ; 4-byte Folded Spill
	ds_write_b128 v12, v[84:87] offset:96
                                        ; implicit-def: $vgpr40_vgpr41
                                        ; implicit-def: $vgpr44_vgpr45
                                        ; implicit-def: $vgpr48_vgpr49
                                        ; implicit-def: $vgpr16_vgpr17
                                        ; implicit-def: $vgpr20_vgpr21
                                        ; implicit-def: $vgpr28_vgpr29
                                        ; implicit-def: $vgpr36_vgpr37
                                        ; implicit-def: $vgpr24_vgpr25
                                        ; implicit-def: $vgpr32_vgpr33
	v_lshlrev_b32_e32 v8, 4, v8
	ds_write_b128 v8, v[88:91]
	ds_write_b128 v8, v[116:119] offset:16
	ds_write_b128 v8, v[108:111] offset:32
	;; [unrolled: 1-line block ×5, first 2 shown]
	buffer_store_dword v8, off, s[40:43], 0 offset:824 ; 4-byte Folded Spill
	ds_write_b128 v8, v[112:115] offset:96
	v_add_co_u32 v8, s6, 0xdc, v178
	buffer_store_dword v8, off, s[40:43], 0 offset:1964 ; 4-byte Folded Spill
	v_mul_u32_u24_e32 v8, 7, v8
	v_lshlrev_b32_e32 v9, 4, v8
	v_add_co_ci_u32_e64 v8, null, 0, 0, s1
	v_add_co_ci_u32_e64 v8, null, 0, 0, s6
	;; [unrolled: 1-line block ×3, first 2 shown]
	ds_write_b128 v9, v[141:144]
	ds_write_b128 v9, v[124:127] offset:16
	ds_write_b128 v9, v[120:123] offset:32
	;; [unrolled: 1-line block ×5, first 2 shown]
	buffer_store_dword v9, off, s[40:43], 0 offset:740 ; 4-byte Folded Spill
	ds_write_b128 v9, v[4:7] offset:96
	s_waitcnt lgkmcnt(0)
	s_waitcnt_vscnt null, 0x0
	s_barrier
	buffer_gl0_inv
	buffer_store_dword v8, off, s[40:43], 0 offset:1316 ; 4-byte Folded Spill
	ds_read_b128 v[12:15], v230
	ds_read_b128 v[80:83], v230 offset:880
	ds_read_b128 v[164:167], v230 offset:5600
	;; [unrolled: 1-line block ×32, first 2 shown]
	s_and_saveexec_b32 s0, vcc_lo
	s_cbranch_execz .LBB0_3
; %bb.2:
	ds_read_b128 v[0:3], v230 offset:2640
	ds_read_b128 v[4:7], v230 offset:5440
	;; [unrolled: 1-line block ×11, first 2 shown]
.LBB0_3:
	s_or_b32 exec_lo, exec_lo, s0
	v_and_b32_e32 v176, 0xff, v178
	buffer_store_dword v178, off, s[40:43], 0 ; 4-byte Folded Spill
	s_mov_b32 s24, 0xf8bb580b
	s_mov_b32 s36, 0x8eee2c13
	;; [unrolled: 1-line block ×3, first 2 shown]
	v_mul_lo_u16 v176, v176, 37
	s_mov_b32 s22, 0xbb3a28a1
	s_mov_b32 s26, 0xfd768dbf
	;; [unrolled: 1-line block ×4, first 2 shown]
	v_lshrrev_b16 v176, 8, v176
	s_mov_b32 s21, 0xbfefac9e
	s_mov_b32 s23, 0xbfe82f19
	;; [unrolled: 1-line block ×4, first 2 shown]
	v_sub_nc_u16 v177, v178, v176
	s_mov_b32 s4, 0xd9c712b6
	s_mov_b32 s6, 0x640f44db
	;; [unrolled: 1-line block ×4, first 2 shown]
	v_lshrrev_b16 v177, 1, v177
	s_mov_b32 s1, 0x3feaeb8c
	s_mov_b32 s5, 0x3fda9628
	;; [unrolled: 1-line block ×4, first 2 shown]
	v_and_b32_e32 v177, 0x7f, v177
	s_mov_b32 s19, 0xbfeeb42a
	s_mov_b32 s39, 0x3fd207e7
	;; [unrolled: 1-line block ×4, first 2 shown]
	v_add_nc_u16 v176, v177, v176
	s_mov_b32 s34, s20
	s_mov_b32 s31, 0x3fe14ced
	;; [unrolled: 1-line block ×4, first 2 shown]
	v_lshrrev_b16 v176, 2, v176
	s_mov_b32 s28, s36
	buffer_store_dword v176, off, s[40:43], 0 offset:1252 ; 4-byte Folded Spill
	v_mul_lo_u16 v176, v176, 7
	v_sub_nc_u16 v176, v178, v176
	v_and_b32_e32 v176, 0xff, v176
	buffer_store_dword v176, off, s[40:43], 0 offset:1268 ; 4-byte Folded Spill
	v_mul_u32_u24_e32 v176, 10, v176
	v_lshlrev_b32_e32 v178, 4, v176
	s_clause 0x3
	global_load_dwordx4 v[179:182], v178, s[14:15] offset:48
	global_load_dwordx4 v[183:186], v178, s[14:15] offset:32
	;; [unrolled: 1-line block ×3, first 2 shown]
	global_load_dwordx4 v[191:194], v178, s[14:15]
	s_waitcnt vmcnt(0) lgkmcnt(20)
	v_mul_f64 v[176:177], v[174:175], v[193:194]
	v_fma_f64 v[252:253], v[172:173], v[191:192], -v[176:177]
	v_mul_f64 v[172:173], v[172:173], v[193:194]
	buffer_store_dword v191, off, s[40:43], 0 offset:920 ; 4-byte Folded Spill
	buffer_store_dword v192, off, s[40:43], 0 offset:924 ; 4-byte Folded Spill
	;; [unrolled: 1-line block ×4, first 2 shown]
	v_fma_f64 v[254:255], v[174:175], v[191:192], v[172:173]
	v_mul_f64 v[172:173], v[166:167], v[189:190]
	v_fma_f64 v[244:245], v[164:165], v[187:188], -v[172:173]
	v_mul_f64 v[164:165], v[164:165], v[189:190]
	buffer_store_dword v187, off, s[40:43], 0 offset:904 ; 4-byte Folded Spill
	buffer_store_dword v188, off, s[40:43], 0 offset:908 ; 4-byte Folded Spill
	;; [unrolled: 1-line block ×4, first 2 shown]
	v_fma_f64 v[242:243], v[166:167], v[187:188], v[164:165]
	s_waitcnt lgkmcnt(16)
	v_mul_f64 v[164:165], v[170:171], v[185:186]
	v_fma_f64 v[240:241], v[168:169], v[183:184], -v[164:165]
	v_mul_f64 v[164:165], v[168:169], v[185:186]
	buffer_store_dword v183, off, s[40:43], 0 offset:888 ; 4-byte Folded Spill
	buffer_store_dword v184, off, s[40:43], 0 offset:892 ; 4-byte Folded Spill
	;; [unrolled: 1-line block ×4, first 2 shown]
	v_fma_f64 v[234:235], v[170:171], v[183:184], v[164:165]
	v_mul_f64 v[164:165], v[162:163], v[181:182]
	v_fma_f64 v[232:233], v[160:161], v[179:180], -v[164:165]
	v_mul_f64 v[160:161], v[160:161], v[181:182]
	buffer_store_dword v179, off, s[40:43], 0 offset:840 ; 4-byte Folded Spill
	buffer_store_dword v180, off, s[40:43], 0 offset:844 ; 4-byte Folded Spill
	;; [unrolled: 1-line block ×4, first 2 shown]
	v_fma_f64 v[224:225], v[162:163], v[179:180], v[160:161]
	s_clause 0x3
	global_load_dwordx4 v[162:165], v178, s[14:15] offset:112
	global_load_dwordx4 v[166:169], v178, s[14:15] offset:96
	;; [unrolled: 1-line block ×4, first 2 shown]
	s_waitcnt vmcnt(0) lgkmcnt(12)
	v_mul_f64 v[160:161], v[158:159], v[176:177]
	v_fma_f64 v[226:227], v[156:157], v[174:175], -v[160:161]
	v_mul_f64 v[156:157], v[156:157], v[176:177]
	buffer_store_dword v174, off, s[40:43], 0 offset:1016 ; 4-byte Folded Spill
	buffer_store_dword v175, off, s[40:43], 0 offset:1020 ; 4-byte Folded Spill
	;; [unrolled: 1-line block ×4, first 2 shown]
	v_fma_f64 v[220:221], v[158:159], v[174:175], v[156:157]
	v_mul_f64 v[156:157], v[146:147], v[172:173]
	v_fma_f64 v[228:229], v[144:145], v[170:171], -v[156:157]
	v_mul_f64 v[144:145], v[144:145], v[172:173]
	buffer_store_dword v170, off, s[40:43], 0 offset:872 ; 4-byte Folded Spill
	buffer_store_dword v171, off, s[40:43], 0 offset:876 ; 4-byte Folded Spill
	;; [unrolled: 1-line block ×4, first 2 shown]
	v_fma_f64 v[222:223], v[146:147], v[170:171], v[144:145]
	s_waitcnt lgkmcnt(8)
	v_mul_f64 v[144:145], v[154:155], v[168:169]
	v_mul_f64 v[146:147], v[142:143], v[164:165]
	v_fma_f64 v[236:237], v[152:153], v[166:167], -v[144:145]
	v_mul_f64 v[144:145], v[152:153], v[168:169]
	buffer_store_dword v166, off, s[40:43], 0 offset:808 ; 4-byte Folded Spill
	buffer_store_dword v167, off, s[40:43], 0 offset:812 ; 4-byte Folded Spill
	;; [unrolled: 1-line block ×4, first 2 shown]
	v_fma_f64 v[246:247], v[140:141], v[162:163], -v[146:147]
	v_mul_f64 v[140:141], v[140:141], v[164:165]
	buffer_store_dword v162, off, s[40:43], 0 offset:776 ; 4-byte Folded Spill
	buffer_store_dword v163, off, s[40:43], 0 offset:780 ; 4-byte Folded Spill
	;; [unrolled: 1-line block ×4, first 2 shown]
	v_fma_f64 v[144:145], v[154:155], v[166:167], v[144:145]
	s_clause 0x1
	global_load_dwordx4 v[152:155], v178, s[14:15] offset:144
	global_load_dwordx4 v[156:159], v178, s[14:15] offset:128
	v_fma_f64 v[238:239], v[142:143], v[162:163], v[140:141]
	s_waitcnt vmcnt(0) lgkmcnt(4)
	v_mul_f64 v[140:141], v[150:151], v[158:159]
	v_fma_f64 v[250:251], v[148:149], v[156:157], -v[140:141]
	v_mul_f64 v[140:141], v[148:149], v[158:159]
	buffer_store_dword v156, off, s[40:43], 0 offset:856 ; 4-byte Folded Spill
	buffer_store_dword v157, off, s[40:43], 0 offset:860 ; 4-byte Folded Spill
	;; [unrolled: 1-line block ×4, first 2 shown]
	v_fma_f64 v[248:249], v[150:151], v[156:157], v[140:141]
	v_mul_f64 v[140:141], v[138:139], v[154:155]
	v_fma_f64 v[140:141], v[136:137], v[152:153], -v[140:141]
	v_mul_f64 v[136:137], v[136:137], v[154:155]
	buffer_store_dword v152, off, s[40:43], 0 offset:792 ; 4-byte Folded Spill
	buffer_store_dword v153, off, s[40:43], 0 offset:796 ; 4-byte Folded Spill
	;; [unrolled: 1-line block ×5, first 2 shown]
	v_fma_f64 v[138:139], v[138:139], v[152:153], v[136:137]
	v_and_b32_e32 v136, 0xff, v196
	v_mul_lo_u16 v136, v136, 37
	v_lshrrev_b16 v136, 8, v136
	v_sub_nc_u16 v137, v196, v136
	v_lshrrev_b16 v137, 1, v137
	v_and_b32_e32 v137, 0x7f, v137
	v_add_nc_u16 v136, v137, v136
	v_lshrrev_b16 v136, 2, v136
	buffer_store_dword v136, off, s[40:43], 0 offset:1284 ; 4-byte Folded Spill
	v_mul_lo_u16 v136, v136, 7
	v_sub_nc_u16 v136, v196, v136
	v_and_b32_e32 v136, 0xff, v136
	buffer_store_dword v136, off, s[40:43], 0 offset:1300 ; 4-byte Folded Spill
	v_mul_u32_u24_e32 v136, 10, v136
	v_lshlrev_b32_e32 v142, 4, v136
	s_clause 0x3
	global_load_dwordx4 v[146:149], v142, s[14:15] offset:48
	global_load_dwordx4 v[150:153], v142, s[14:15] offset:32
	;; [unrolled: 1-line block ×3, first 2 shown]
	global_load_dwordx4 v[158:161], v142, s[14:15]
	s_waitcnt vmcnt(0)
	v_mul_f64 v[136:137], v[134:135], v[160:161]
	v_fma_f64 v[218:219], v[132:133], v[158:159], -v[136:137]
	v_mul_f64 v[132:133], v[132:133], v[160:161]
	buffer_store_dword v158, off, s[40:43], 0 offset:1048 ; 4-byte Folded Spill
	buffer_store_dword v159, off, s[40:43], 0 offset:1052 ; 4-byte Folded Spill
	buffer_store_dword v160, off, s[40:43], 0 offset:1056 ; 4-byte Folded Spill
	buffer_store_dword v161, off, s[40:43], 0 offset:1060 ; 4-byte Folded Spill
	v_fma_f64 v[216:217], v[134:135], v[158:159], v[132:133]
	v_mul_f64 v[132:133], v[126:127], v[156:157]
	v_fma_f64 v[214:215], v[124:125], v[154:155], -v[132:133]
	v_mul_f64 v[124:125], v[124:125], v[156:157]
	buffer_store_dword v154, off, s[40:43], 0 offset:984 ; 4-byte Folded Spill
	buffer_store_dword v155, off, s[40:43], 0 offset:988 ; 4-byte Folded Spill
	buffer_store_dword v156, off, s[40:43], 0 offset:992 ; 4-byte Folded Spill
	buffer_store_dword v157, off, s[40:43], 0 offset:996 ; 4-byte Folded Spill
	v_fma_f64 v[212:213], v[126:127], v[154:155], v[124:125]
	;; [unrolled: 8-line block ×4, first 2 shown]
	s_clause 0x3
	global_load_dwordx4 v[124:127], v142, s[14:15] offset:112
	global_load_dwordx4 v[128:131], v142, s[14:15] offset:96
	;; [unrolled: 1-line block ×4, first 2 shown]
	s_waitcnt vmcnt(0)
	v_mul_f64 v[122:123], v[118:119], v[148:149]
	v_fma_f64 v[122:123], v[116:117], v[146:147], -v[122:123]
	v_mul_f64 v[116:117], v[116:117], v[148:149]
	buffer_store_dword v146, off, s[40:43], 0 offset:1112 ; 4-byte Folded Spill
	buffer_store_dword v147, off, s[40:43], 0 offset:1116 ; 4-byte Folded Spill
	;; [unrolled: 1-line block ×4, first 2 shown]
	v_fma_f64 v[116:117], v[118:119], v[146:147], v[116:117]
	v_mul_f64 v[118:119], v[110:111], v[134:135]
	v_fma_f64 v[118:119], v[108:109], v[132:133], -v[118:119]
	v_mul_f64 v[108:109], v[108:109], v[134:135]
	buffer_store_dword v132, off, s[40:43], 0 offset:968 ; 4-byte Folded Spill
	buffer_store_dword v133, off, s[40:43], 0 offset:972 ; 4-byte Folded Spill
	;; [unrolled: 1-line block ×4, first 2 shown]
	v_fma_f64 v[108:109], v[110:111], v[132:133], v[108:109]
	v_mul_f64 v[110:111], v[114:115], v[130:131]
	v_fma_f64 v[210:211], v[112:113], v[128:129], -v[110:111]
	v_mul_f64 v[110:111], v[112:113], v[130:131]
	v_mul_f64 v[112:113], v[106:107], v[126:127]
	buffer_store_dword v128, off, s[40:43], 0 offset:760 ; 4-byte Folded Spill
	buffer_store_dword v129, off, s[40:43], 0 offset:764 ; 4-byte Folded Spill
	;; [unrolled: 1-line block ×4, first 2 shown]
	v_fma_f64 v[112:113], v[104:105], v[124:125], -v[112:113]
	v_mul_f64 v[104:105], v[104:105], v[126:127]
	buffer_store_dword v124, off, s[40:43], 0 offset:744 ; 4-byte Folded Spill
	buffer_store_dword v125, off, s[40:43], 0 offset:748 ; 4-byte Folded Spill
	;; [unrolled: 1-line block ×4, first 2 shown]
	v_fma_f64 v[110:111], v[114:115], v[128:129], v[110:111]
	v_fma_f64 v[104:105], v[106:107], v[124:125], v[104:105]
	s_clause 0x1
	global_load_dwordx4 v[124:127], v142, s[14:15] offset:144
	global_load_dwordx4 v[128:131], v142, s[14:15] offset:128
	s_waitcnt vmcnt(0) lgkmcnt(2)
	v_mul_f64 v[106:107], v[102:103], v[130:131]
	v_fma_f64 v[106:107], v[100:101], v[128:129], -v[106:107]
	v_mul_f64 v[100:101], v[100:101], v[130:131]
	buffer_store_dword v128, off, s[40:43], 0 offset:1032 ; 4-byte Folded Spill
	buffer_store_dword v129, off, s[40:43], 0 offset:1036 ; 4-byte Folded Spill
	;; [unrolled: 1-line block ×4, first 2 shown]
	v_fma_f64 v[100:101], v[102:103], v[128:129], v[100:101]
	v_mul_f64 v[102:103], v[98:99], v[126:127]
	v_fma_f64 v[102:103], v[96:97], v[124:125], -v[102:103]
	v_mul_f64 v[96:97], v[96:97], v[126:127]
	buffer_store_dword v124, off, s[40:43], 0 offset:1000 ; 4-byte Folded Spill
	buffer_store_dword v125, off, s[40:43], 0 offset:1004 ; 4-byte Folded Spill
	;; [unrolled: 1-line block ×5, first 2 shown]
	v_fma_f64 v[96:97], v[98:99], v[124:125], v[96:97]
	v_and_b32_e32 v98, 0xff, v195
	buffer_store_dword v98, off, s[40:43], 0 offset:1348 ; 4-byte Folded Spill
	v_mul_lo_u16 v98, v98, 37
	v_lshrrev_b16 v98, 8, v98
	v_sub_nc_u16 v99, v195, v98
	v_lshrrev_b16 v99, 1, v99
	v_and_b32_e32 v99, 0x7f, v99
	v_add_nc_u16 v98, v99, v98
	v_lshrrev_b16 v98, 2, v98
	buffer_store_dword v98, off, s[40:43], 0 offset:1332 ; 4-byte Folded Spill
	v_mul_lo_u16 v98, v98, 7
	v_sub_nc_u16 v98, v195, v98
	v_and_b32_e32 v231, 0xff, v98
	v_mul_u32_u24_e32 v98, 10, v231
	v_lshlrev_b32_e32 v114, 4, v98
	s_clause 0x3
	global_load_dwordx4 v[124:127], v114, s[14:15] offset:48
	global_load_dwordx4 v[128:131], v114, s[14:15] offset:32
	;; [unrolled: 1-line block ×3, first 2 shown]
	global_load_dwordx4 v[146:149], v114, s[14:15]
	s_waitcnt vmcnt(0)
	v_mul_f64 v[98:99], v[94:95], v[148:149]
	v_fma_f64 v[198:199], v[92:93], v[146:147], -v[98:99]
	v_mul_f64 v[92:93], v[92:93], v[148:149]
	buffer_store_dword v146, off, s[40:43], 0 offset:1128 ; 4-byte Folded Spill
	buffer_store_dword v147, off, s[40:43], 0 offset:1132 ; 4-byte Folded Spill
	buffer_store_dword v148, off, s[40:43], 0 offset:1136 ; 4-byte Folded Spill
	buffer_store_dword v149, off, s[40:43], 0 offset:1140 ; 4-byte Folded Spill
	v_fma_f64 v[196:197], v[94:95], v[146:147], v[92:93]
	v_mul_f64 v[92:93], v[90:91], v[134:135]
	v_fma_f64 v[188:189], v[88:89], v[132:133], -v[92:93]
	v_mul_f64 v[88:89], v[88:89], v[134:135]
	buffer_store_dword v132, off, s[40:43], 0 offset:1096 ; 4-byte Folded Spill
	buffer_store_dword v133, off, s[40:43], 0 offset:1100 ; 4-byte Folded Spill
	buffer_store_dword v134, off, s[40:43], 0 offset:1104 ; 4-byte Folded Spill
	buffer_store_dword v135, off, s[40:43], 0 offset:1108 ; 4-byte Folded Spill
	v_fma_f64 v[186:187], v[90:91], v[132:133], v[88:89]
	;; [unrolled: 8-line block ×4, first 2 shown]
	s_clause 0x3
	global_load_dwordx4 v[84:87], v114, s[14:15] offset:112
	global_load_dwordx4 v[88:91], v114, s[14:15] offset:96
	;; [unrolled: 1-line block ×4, first 2 shown]
	v_add_f64 v[78:79], v[220:221], -v[222:223]
	s_waitcnt vmcnt(0)
	v_mul_f64 v[76:77], v[74:75], v[126:127]
	v_fma_f64 v[128:129], v[72:73], v[124:125], -v[76:77]
	v_mul_f64 v[72:73], v[72:73], v[126:127]
	buffer_store_dword v124, off, s[40:43], 0 offset:1196 ; 4-byte Folded Spill
	buffer_store_dword v125, off, s[40:43], 0 offset:1200 ; 4-byte Folded Spill
	buffer_store_dword v126, off, s[40:43], 0 offset:1204 ; 4-byte Folded Spill
	buffer_store_dword v127, off, s[40:43], 0 offset:1208 ; 4-byte Folded Spill
	v_fma_f64 v[124:125], v[74:75], v[124:125], v[72:73]
	v_mul_f64 v[72:73], v[70:71], v[94:95]
	v_fma_f64 v[130:131], v[68:69], v[92:93], -v[72:73]
	v_mul_f64 v[68:69], v[68:69], v[94:95]
	buffer_store_dword v92, off, s[40:43], 0 offset:1176 ; 4-byte Folded Spill
	buffer_store_dword v93, off, s[40:43], 0 offset:1180 ; 4-byte Folded Spill
	buffer_store_dword v94, off, s[40:43], 0 offset:1184 ; 4-byte Folded Spill
	buffer_store_dword v95, off, s[40:43], 0 offset:1188 ; 4-byte Folded Spill
	v_fma_f64 v[126:127], v[70:71], v[92:93], v[68:69]
	;; [unrolled: 8-line block ×4, first 2 shown]
	s_clause 0x1
	global_load_dwordx4 v[62:65], v114, s[14:15] offset:144
	global_load_dwordx4 v[66:69], v114, s[14:15] offset:128
	s_waitcnt vmcnt(0) lgkmcnt(1)
	v_mul_f64 v[60:61], v[58:59], v[68:69]
	v_fma_f64 v[194:195], v[56:57], v[66:67], -v[60:61]
	v_mul_f64 v[56:57], v[56:57], v[68:69]
	buffer_store_dword v66, off, s[40:43], 0 offset:1228 ; 4-byte Folded Spill
	buffer_store_dword v67, off, s[40:43], 0 offset:1232 ; 4-byte Folded Spill
	;; [unrolled: 1-line block ×4, first 2 shown]
	v_fma_f64 v[192:193], v[58:59], v[66:67], v[56:57]
	s_waitcnt lgkmcnt(0)
	v_mul_f64 v[56:57], v[54:55], v[64:65]
	v_fma_f64 v[202:203], v[52:53], v[62:63], -v[56:57]
	v_mul_f64 v[52:53], v[52:53], v[64:65]
	buffer_store_dword v62, off, s[40:43], 0 offset:1212 ; 4-byte Folded Spill
	buffer_store_dword v63, off, s[40:43], 0 offset:1216 ; 4-byte Folded Spill
	buffer_store_dword v64, off, s[40:43], 0 offset:1220 ; 4-byte Folded Spill
	buffer_store_dword v65, off, s[40:43], 0 offset:1224 ; 4-byte Folded Spill
	v_fma_f64 v[200:201], v[54:55], v[62:63], v[52:53]
	buffer_load_dword v54, off, s[40:43], 0 offset:4 ; 4-byte Folded Reload
	s_waitcnt vmcnt(0)
	v_and_b32_e32 v52, 0xff, v54
	buffer_store_dword v52, off, s[40:43], 0 offset:1444 ; 4-byte Folded Spill
	v_mul_lo_u16 v52, v52, 37
	v_lshrrev_b16 v52, 8, v52
	v_sub_nc_u16 v53, v54, v52
	v_lshrrev_b16 v53, 1, v53
	v_and_b32_e32 v53, 0x7f, v53
	v_add_nc_u16 v52, v53, v52
	v_lshrrev_b16 v52, 2, v52
	buffer_store_dword v52, off, s[40:43], 0 offset:732 ; 4-byte Folded Spill
	v_mul_lo_u16 v52, v52, 7
	v_sub_nc_u16 v52, v54, v52
	v_and_b32_e32 v52, 0xff, v52
	buffer_store_dword v52, off, s[40:43], 0 offset:736 ; 4-byte Folded Spill
	v_mul_u32_u24_e32 v52, 10, v52
	v_lshlrev_b32_e32 v54, 4, v52
	s_clause 0x3
	global_load_dwordx4 v[67:70], v54, s[14:15] offset:48
	global_load_dwordx4 v[63:66], v54, s[14:15] offset:32
	;; [unrolled: 1-line block ×3, first 2 shown]
	global_load_dwordx4 v[55:58], v54, s[14:15]
	s_waitcnt vmcnt(0)
	v_mul_f64 v[52:53], v[6:7], v[57:58]
	v_fma_f64 v[142:143], v[4:5], v[55:56], -v[52:53]
	v_mul_f64 v[4:5], v[4:5], v[57:58]
	buffer_store_dword v55, off, s[40:43], 0 offset:2156 ; 4-byte Folded Spill
	buffer_store_dword v56, off, s[40:43], 0 offset:2160 ; 4-byte Folded Spill
	;; [unrolled: 1-line block ×4, first 2 shown]
	v_fma_f64 v[136:137], v[6:7], v[55:56], v[4:5]
	v_mul_f64 v[4:5], v[42:43], v[61:62]
	v_add_f64 v[6:7], v[14:15], v[254:255]
	v_mov_b32_e32 v157, v137
	v_fma_f64 v[146:147], v[40:41], v[59:60], -v[4:5]
	v_mul_f64 v[4:5], v[40:41], v[61:62]
	buffer_store_dword v59, off, s[40:43], 0 offset:2172 ; 4-byte Folded Spill
	buffer_store_dword v60, off, s[40:43], 0 offset:2176 ; 4-byte Folded Spill
	;; [unrolled: 1-line block ×4, first 2 shown]
	v_add_f64 v[6:7], v[6:7], v[242:243]
	v_mov_b32_e32 v156, v136
	v_add_f64 v[6:7], v[6:7], v[234:235]
	v_add_f64 v[6:7], v[6:7], v[224:225]
	;; [unrolled: 1-line block ×8, first 2 shown]
	v_fma_f64 v[148:149], v[42:43], v[59:60], v[4:5]
	v_mul_f64 v[4:5], v[46:47], v[65:66]
	v_fma_f64 v[152:153], v[44:45], v[63:64], -v[4:5]
	v_mul_f64 v[4:5], v[44:45], v[65:66]
	buffer_store_dword v63, off, s[40:43], 0 offset:2204 ; 4-byte Folded Spill
	buffer_store_dword v64, off, s[40:43], 0 offset:2208 ; 4-byte Folded Spill
	;; [unrolled: 1-line block ×4, first 2 shown]
	v_fma_f64 v[154:155], v[46:47], v[63:64], v[4:5]
	v_mul_f64 v[4:5], v[50:51], v[69:70]
	v_fma_f64 v[4:5], v[48:49], v[67:68], -v[4:5]
	buffer_store_dword v4, off, s[40:43], 0 offset:1412 ; 4-byte Folded Spill
	buffer_store_dword v5, off, s[40:43], 0 offset:1416 ; 4-byte Folded Spill
	v_mul_f64 v[4:5], v[48:49], v[69:70]
	buffer_store_dword v67, off, s[40:43], 0 offset:2220 ; 4-byte Folded Spill
	buffer_store_dword v68, off, s[40:43], 0 offset:2224 ; 4-byte Folded Spill
	;; [unrolled: 1-line block ×4, first 2 shown]
	v_fma_f64 v[160:161], v[50:51], v[67:68], v[4:5]
	s_clause 0x3
	global_load_dwordx4 v[40:43], v54, s[14:15] offset:112
	global_load_dwordx4 v[44:47], v54, s[14:15] offset:96
	;; [unrolled: 1-line block ×4, first 2 shown]
	s_waitcnt vmcnt(0)
	v_mul_f64 v[4:5], v[18:19], v[57:58]
	v_fma_f64 v[170:171], v[16:17], v[55:56], -v[4:5]
	v_mul_f64 v[4:5], v[16:17], v[57:58]
	buffer_store_dword v55, off, s[40:43], 0 offset:2300 ; 4-byte Folded Spill
	buffer_store_dword v56, off, s[40:43], 0 offset:2304 ; 4-byte Folded Spill
	;; [unrolled: 1-line block ×4, first 2 shown]
	v_fma_f64 v[174:175], v[18:19], v[55:56], v[4:5]
	v_mul_f64 v[4:5], v[22:23], v[50:51]
	v_fma_f64 v[4:5], v[20:21], v[48:49], -v[4:5]
	buffer_store_dword v4, off, s[40:43], 0 offset:1380 ; 4-byte Folded Spill
	buffer_store_dword v5, off, s[40:43], 0 offset:1384 ; 4-byte Folded Spill
	v_mul_f64 v[4:5], v[20:21], v[50:51]
	buffer_store_dword v48, off, s[40:43], 0 offset:2284 ; 4-byte Folded Spill
	buffer_store_dword v49, off, s[40:43], 0 offset:2288 ; 4-byte Folded Spill
	;; [unrolled: 1-line block ×4, first 2 shown]
	v_fma_f64 v[4:5], v[22:23], v[48:49], v[4:5]
	buffer_store_dword v4, off, s[40:43], 0 offset:1396 ; 4-byte Folded Spill
	buffer_store_dword v5, off, s[40:43], 0 offset:1400 ; 4-byte Folded Spill
	v_mul_f64 v[4:5], v[30:31], v[46:47]
	v_fma_f64 v[166:167], v[28:29], v[44:45], -v[4:5]
	v_mul_f64 v[4:5], v[28:29], v[46:47]
	buffer_store_dword v44, off, s[40:43], 0 offset:2252 ; 4-byte Folded Spill
	buffer_store_dword v45, off, s[40:43], 0 offset:2256 ; 4-byte Folded Spill
	;; [unrolled: 1-line block ×4, first 2 shown]
	v_fma_f64 v[172:173], v[30:31], v[44:45], v[4:5]
	v_mul_f64 v[4:5], v[38:39], v[42:43]
	v_fma_f64 v[158:159], v[36:37], v[40:41], -v[4:5]
	v_mul_f64 v[4:5], v[36:37], v[42:43]
	buffer_store_dword v40, off, s[40:43], 0 offset:2236 ; 4-byte Folded Spill
	buffer_store_dword v41, off, s[40:43], 0 offset:2240 ; 4-byte Folded Spill
	;; [unrolled: 1-line block ×4, first 2 shown]
	s_clause 0x1
	global_load_dwordx4 v[16:19], v54, s[14:15] offset:144
	global_load_dwordx4 v[20:23], v54, s[14:15] offset:128
	v_fma_f64 v[164:165], v[38:39], v[40:41], v[4:5]
	s_waitcnt vmcnt(0)
	v_mul_f64 v[4:5], v[26:27], v[22:23]
	v_fma_f64 v[150:151], v[24:25], v[20:21], -v[4:5]
	v_mul_f64 v[4:5], v[24:25], v[22:23]
	buffer_store_dword v20, off, s[40:43], 0 offset:2268 ; 4-byte Folded Spill
	buffer_store_dword v21, off, s[40:43], 0 offset:2272 ; 4-byte Folded Spill
	;; [unrolled: 1-line block ×4, first 2 shown]
	v_add_f64 v[22:23], v[254:255], -v[138:139]
	v_mul_f64 v[24:25], v[22:23], s[24:25]
	v_mul_f64 v[40:41], v[22:23], s[20:21]
	;; [unrolled: 1-line block ×3, first 2 shown]
	v_fma_f64 v[162:163], v[26:27], v[20:21], v[4:5]
	v_mul_f64 v[4:5], v[34:35], v[18:19]
	v_add_f64 v[20:21], v[252:253], -v[140:141]
	v_fma_f64 v[84:85], v[32:33], v[16:17], -v[4:5]
	v_mul_f64 v[4:5], v[32:33], v[18:19]
	buffer_store_dword v16, off, s[40:43], 0 offset:2188 ; 4-byte Folded Spill
	buffer_store_dword v17, off, s[40:43], 0 offset:2192 ; 4-byte Folded Spill
	;; [unrolled: 1-line block ×4, first 2 shown]
	v_mul_f64 v[32:33], v[22:23], s[36:37]
	v_mul_f64 v[22:23], v[22:23], s[26:27]
	v_add_f64 v[18:19], v[254:255], v[138:139]
	v_mul_f64 v[28:29], v[20:21], s[24:25]
	v_mul_f64 v[36:37], v[20:21], s[36:37]
	;; [unrolled: 1-line block ×5, first 2 shown]
	v_mov_b32_e32 v255, v151
	v_mov_b32_e32 v254, v150
	v_fma_f64 v[30:31], v[18:19], s[0:1], v[28:29]
	v_fma_f64 v[28:29], v[18:19], s[0:1], -v[28:29]
	v_fma_f64 v[38:39], v[18:19], s[4:5], v[36:37]
	v_fma_f64 v[36:37], v[18:19], s[4:5], -v[36:37]
	v_fma_f64 v[46:47], v[18:19], s[6:7], v[44:45]
	v_fma_f64 v[44:45], v[18:19], s[6:7], -v[44:45]
	v_fma_f64 v[54:55], v[18:19], s[16:17], v[52:53]
	v_fma_f64 v[52:53], v[18:19], s[16:17], -v[52:53]
	v_fma_f64 v[58:59], v[18:19], s[18:19], v[20:21]
	v_add_f64 v[30:31], v[14:15], v[30:31]
	v_add_f64 v[28:29], v[14:15], v[28:29]
	;; [unrolled: 1-line block ×9, first 2 shown]
	v_fma_f64 v[168:169], v[34:35], v[16:17], v[4:5]
	v_add_f64 v[16:17], v[252:253], v[140:141]
	v_add_f64 v[4:5], v[12:13], v[252:253]
	v_fma_f64 v[26:27], v[16:17], s[0:1], -v[24:25]
	v_fma_f64 v[24:25], v[16:17], s[0:1], v[24:25]
	v_fma_f64 v[34:35], v[16:17], s[4:5], -v[32:33]
	v_fma_f64 v[32:33], v[16:17], s[4:5], v[32:33]
	v_fma_f64 v[42:43], v[16:17], s[6:7], -v[40:41]
	v_fma_f64 v[40:41], v[16:17], s[6:7], v[40:41]
	v_fma_f64 v[50:51], v[16:17], s[16:17], -v[48:49]
	v_fma_f64 v[48:49], v[16:17], s[16:17], v[48:49]
	v_fma_f64 v[56:57], v[16:17], s[18:19], -v[22:23]
	v_fma_f64 v[16:17], v[16:17], s[18:19], v[22:23]
	v_add_f64 v[22:23], v[242:243], -v[248:249]
	v_add_f64 v[4:5], v[4:5], v[244:245]
	v_add_f64 v[26:27], v[12:13], v[26:27]
	;; [unrolled: 1-line block ×11, first 2 shown]
	v_fma_f64 v[16:17], v[18:19], s[18:19], -v[20:21]
	v_mul_f64 v[60:61], v[22:23], s[36:37]
	v_add_f64 v[20:21], v[244:245], -v[250:251]
	v_add_f64 v[18:19], v[242:243], v[248:249]
	v_add_f64 v[4:5], v[4:5], v[240:241]
	;; [unrolled: 1-line block ×5, first 2 shown]
	v_fma_f64 v[62:63], v[16:17], s[4:5], -v[60:61]
	v_fma_f64 v[60:61], v[16:17], s[4:5], v[60:61]
	v_add_f64 v[4:5], v[4:5], v[226:227]
	v_add_f64 v[26:27], v[62:63], v[26:27]
	v_mul_f64 v[62:63], v[20:21], s[36:37]
	v_add_f64 v[24:25], v[60:61], v[24:25]
	v_add_f64 v[4:5], v[4:5], v[228:229]
	v_fma_f64 v[60:61], v[18:19], s[4:5], -v[62:63]
	v_fma_f64 v[64:65], v[18:19], s[4:5], v[62:63]
	v_add_f64 v[4:5], v[4:5], v[236:237]
	v_add_f64 v[28:29], v[60:61], v[28:29]
	v_mul_f64 v[60:61], v[22:23], s[22:23]
	v_add_f64 v[30:31], v[64:65], v[30:31]
	v_add_f64 v[4:5], v[4:5], v[246:247]
	;; [unrolled: 7-line block ×3, first 2 shown]
	buffer_store_dword v4, off, s[40:43], 0 offset:1364 ; 4-byte Folded Spill
	buffer_store_dword v5, off, s[40:43], 0 offset:1368 ; 4-byte Folded Spill
	;; [unrolled: 1-line block ×4, first 2 shown]
	v_fma_f64 v[60:61], v[18:19], s[16:17], -v[62:63]
	v_fma_f64 v[64:65], v[18:19], s[16:17], v[62:63]
	v_add_f64 v[36:37], v[60:61], v[36:37]
	v_mul_f64 v[60:61], v[22:23], s[38:39]
	v_add_f64 v[38:39], v[64:65], v[38:39]
	v_fma_f64 v[62:63], v[16:17], s[18:19], -v[60:61]
	v_fma_f64 v[60:61], v[16:17], s[18:19], v[60:61]
	v_add_f64 v[42:43], v[62:63], v[42:43]
	v_mul_f64 v[62:63], v[20:21], s[38:39]
	v_add_f64 v[40:41], v[60:61], v[40:41]
	v_fma_f64 v[60:61], v[18:19], s[18:19], -v[62:63]
	v_fma_f64 v[64:65], v[18:19], s[18:19], v[62:63]
	v_add_f64 v[44:45], v[60:61], v[44:45]
	v_mul_f64 v[60:61], v[22:23], s[34:35]
	v_mul_f64 v[22:23], v[22:23], s[30:31]
	v_add_f64 v[46:47], v[64:65], v[46:47]
	v_fma_f64 v[62:63], v[16:17], s[6:7], -v[60:61]
	v_fma_f64 v[60:61], v[16:17], s[6:7], v[60:61]
	v_add_f64 v[50:51], v[62:63], v[50:51]
	v_mul_f64 v[62:63], v[20:21], s[34:35]
	v_add_f64 v[48:49], v[60:61], v[48:49]
	v_mul_f64 v[20:21], v[20:21], s[30:31]
	v_fma_f64 v[60:61], v[18:19], s[6:7], -v[62:63]
	v_fma_f64 v[64:65], v[18:19], s[6:7], v[62:63]
	v_add_f64 v[52:53], v[60:61], v[52:53]
	v_fma_f64 v[60:61], v[16:17], s[0:1], -v[22:23]
	v_fma_f64 v[16:17], v[16:17], s[0:1], v[22:23]
	v_add_f64 v[22:23], v[234:235], -v[238:239]
	v_add_f64 v[54:55], v[64:65], v[54:55]
	v_add_f64 v[56:57], v[60:61], v[56:57]
	v_fma_f64 v[60:61], v[18:19], s[0:1], v[20:21]
	v_add_f64 v[12:13], v[16:17], v[12:13]
	v_fma_f64 v[16:17], v[18:19], s[0:1], -v[20:21]
	v_add_f64 v[20:21], v[240:241], -v[246:247]
	v_add_f64 v[18:19], v[234:235], v[238:239]
	v_add_f64 v[58:59], v[60:61], v[58:59]
	v_mul_f64 v[60:61], v[22:23], s[20:21]
	v_add_f64 v[14:15], v[16:17], v[14:15]
	v_add_f64 v[16:17], v[240:241], v[246:247]
	v_add_f64 v[246:247], v[160:161], -v[172:173]
	v_fma_f64 v[62:63], v[16:17], s[6:7], -v[60:61]
	v_fma_f64 v[60:61], v[16:17], s[6:7], v[60:61]
	v_add_f64 v[26:27], v[62:63], v[26:27]
	v_mul_f64 v[62:63], v[20:21], s[20:21]
	v_add_f64 v[24:25], v[60:61], v[24:25]
	v_fma_f64 v[60:61], v[18:19], s[6:7], -v[62:63]
	v_fma_f64 v[64:65], v[18:19], s[6:7], v[62:63]
	v_add_f64 v[28:29], v[60:61], v[28:29]
	v_mul_f64 v[60:61], v[22:23], s[38:39]
	v_add_f64 v[30:31], v[64:65], v[30:31]
	;; [unrolled: 5-line block ×5, first 2 shown]
	v_fma_f64 v[60:61], v[18:19], s[4:5], -v[62:63]
	v_fma_f64 v[64:65], v[18:19], s[4:5], v[62:63]
	v_add_f64 v[44:45], v[60:61], v[44:45]
	v_mul_f64 v[60:61], v[22:23], s[24:25]
	v_mul_f64 v[22:23], v[22:23], s[22:23]
	v_add_f64 v[46:47], v[64:65], v[46:47]
	v_fma_f64 v[62:63], v[16:17], s[0:1], -v[60:61]
	v_fma_f64 v[60:61], v[16:17], s[0:1], v[60:61]
	v_add_f64 v[50:51], v[62:63], v[50:51]
	v_mul_f64 v[62:63], v[20:21], s[24:25]
	v_add_f64 v[48:49], v[60:61], v[48:49]
	v_mul_f64 v[20:21], v[20:21], s[22:23]
	v_fma_f64 v[60:61], v[18:19], s[0:1], -v[62:63]
	v_fma_f64 v[64:65], v[18:19], s[0:1], v[62:63]
	v_add_f64 v[52:53], v[60:61], v[52:53]
	v_fma_f64 v[60:61], v[16:17], s[16:17], -v[22:23]
	v_fma_f64 v[16:17], v[16:17], s[16:17], v[22:23]
	v_add_f64 v[22:23], v[224:225], -v[144:145]
	v_add_f64 v[54:55], v[64:65], v[54:55]
	v_add_f64 v[56:57], v[60:61], v[56:57]
	v_fma_f64 v[60:61], v[18:19], s[16:17], v[20:21]
	v_add_f64 v[12:13], v[16:17], v[12:13]
	v_fma_f64 v[16:17], v[18:19], s[16:17], -v[20:21]
	v_add_f64 v[20:21], v[232:233], -v[236:237]
	v_add_f64 v[18:19], v[224:225], v[144:145]
	v_add_f64 v[224:225], v[148:149], -v[162:163]
	v_add_f64 v[58:59], v[60:61], v[58:59]
	v_mul_f64 v[60:61], v[22:23], s[22:23]
	v_add_f64 v[14:15], v[16:17], v[14:15]
	v_add_f64 v[16:17], v[232:233], v[236:237]
	v_fma_f64 v[62:63], v[16:17], s[16:17], -v[60:61]
	v_add_f64 v[62:63], v[62:63], v[26:27]
	v_mul_f64 v[26:27], v[20:21], s[22:23]
	v_fma_f64 v[64:65], v[18:19], s[16:17], v[26:27]
	v_add_f64 v[64:65], v[64:65], v[30:31]
	v_fma_f64 v[30:31], v[16:17], s[16:17], v[60:61]
	v_add_f64 v[60:61], v[30:31], v[24:25]
	v_fma_f64 v[24:25], v[18:19], s[16:17], -v[26:27]
	v_add_f64 v[66:67], v[24:25], v[28:29]
	v_mul_f64 v[24:25], v[22:23], s[34:35]
	v_fma_f64 v[26:27], v[16:17], s[6:7], -v[24:25]
	v_fma_f64 v[24:25], v[16:17], s[6:7], v[24:25]
	v_add_f64 v[68:69], v[26:27], v[34:35]
	v_mul_f64 v[26:27], v[20:21], s[34:35]
	v_add_f64 v[70:71], v[24:25], v[32:33]
	v_fma_f64 v[24:25], v[18:19], s[6:7], -v[26:27]
	v_fma_f64 v[28:29], v[18:19], s[6:7], v[26:27]
	v_add_f64 v[72:73], v[24:25], v[36:37]
	v_mul_f64 v[24:25], v[22:23], s[24:25]
	v_add_f64 v[38:39], v[28:29], v[38:39]
	;; [unrolled: 5-line block ×4, first 2 shown]
	v_mul_f64 v[22:23], v[22:23], s[28:29]
	v_mul_f64 v[44:45], v[78:79], s[26:27]
	v_fma_f64 v[26:27], v[16:17], s[18:19], -v[24:25]
	v_fma_f64 v[24:25], v[16:17], s[18:19], v[24:25]
	v_add_f64 v[36:37], v[26:27], v[50:51]
	v_mul_f64 v[26:27], v[20:21], s[26:27]
	v_add_f64 v[32:33], v[24:25], v[48:49]
	v_fma_f64 v[28:29], v[18:19], s[18:19], v[26:27]
	v_fma_f64 v[24:25], v[18:19], s[18:19], -v[26:27]
	v_add_f64 v[34:35], v[28:29], v[54:55]
	v_mul_f64 v[28:29], v[20:21], s[28:29]
	v_add_f64 v[30:31], v[24:25], v[52:53]
	v_fma_f64 v[24:25], v[16:17], s[4:5], -v[22:23]
	v_fma_f64 v[16:17], v[16:17], s[4:5], v[22:23]
	v_add_f64 v[22:23], v[226:227], v[228:229]
	v_mul_f64 v[52:53], v[78:79], s[30:31]
	v_fma_f64 v[20:21], v[18:19], s[4:5], v[28:29]
	v_add_f64 v[26:27], v[24:25], v[56:57]
	v_fma_f64 v[48:49], v[22:23], s[0:1], -v[52:53]
	v_add_f64 v[24:25], v[20:21], v[58:59]
	v_add_f64 v[20:21], v[16:17], v[12:13]
	v_fma_f64 v[12:13], v[18:19], s[4:5], -v[28:29]
	v_add_f64 v[28:29], v[226:227], -v[228:229]
	v_add_f64 v[18:19], v[220:221], v[222:223]
	v_add_f64 v[222:223], v[146:147], -v[150:151]
	v_add_f64 v[16:17], v[12:13], v[14:15]
	v_mul_f64 v[46:47], v[28:29], s[26:27]
	v_mul_f64 v[54:55], v[28:29], s[30:31]
	v_fma_f64 v[12:13], v[22:23], s[18:19], -v[44:45]
	v_fma_f64 v[44:45], v[22:23], s[18:19], v[44:45]
	v_fma_f64 v[14:15], v[18:19], s[18:19], v[46:47]
	;; [unrolled: 1-line block ×3, first 2 shown]
	v_add_f64 v[4:5], v[12:13], v[62:63]
	v_fma_f64 v[46:47], v[18:19], s[18:19], -v[46:47]
	v_add_f64 v[12:13], v[48:49], v[68:69]
	v_add_f64 v[6:7], v[14:15], v[64:65]
	;; [unrolled: 1-line block ×3, first 2 shown]
	v_fma_f64 v[38:39], v[22:23], s[0:1], v[52:53]
	buffer_store_dword v4, off, s[40:43], 0 offset:1428 ; 4-byte Folded Spill
	buffer_store_dword v5, off, s[40:43], 0 offset:1432 ; 4-byte Folded Spill
	;; [unrolled: 1-line block ×4, first 2 shown]
	v_add_f64 v[4:5], v[44:45], v[60:61]
	v_add_f64 v[52:53], v[38:39], v[70:71]
	v_fma_f64 v[38:39], v[18:19], s[0:1], -v[54:55]
	v_add_f64 v[6:7], v[46:47], v[66:67]
	buffer_store_dword v4, off, s[40:43], 0 offset:1460 ; 4-byte Folded Spill
	buffer_store_dword v5, off, s[40:43], 0 offset:1464 ; 4-byte Folded Spill
	buffer_store_dword v6, off, s[40:43], 0 offset:1468 ; 4-byte Folded Spill
	buffer_store_dword v7, off, s[40:43], 0 offset:1472 ; 4-byte Folded Spill
	v_add_f64 v[54:55], v[38:39], v[72:73]
	v_mul_f64 v[38:39], v[78:79], s[22:23]
	v_mov_b32_e32 v4, v84
	v_mov_b32_e32 v5, v85
	;; [unrolled: 1-line block ×10, first 2 shown]
	v_fma_f64 v[56:57], v[22:23], s[16:17], -v[38:39]
	v_fma_f64 v[38:39], v[22:23], s[16:17], v[38:39]
	v_add_f64 v[56:57], v[56:57], v[42:43]
	v_mul_f64 v[42:43], v[28:29], s[22:23]
	v_add_f64 v[60:61], v[38:39], v[40:41]
	v_fma_f64 v[38:39], v[18:19], s[16:17], -v[42:43]
	v_fma_f64 v[58:59], v[18:19], s[16:17], v[42:43]
	v_add_f64 v[62:63], v[38:39], v[76:77]
	v_mul_f64 v[38:39], v[78:79], s[28:29]
	v_add_f64 v[58:59], v[58:59], v[74:75]
	v_fma_f64 v[40:41], v[22:23], s[4:5], -v[38:39]
	v_add_f64 v[64:65], v[40:41], v[36:37]
	v_mul_f64 v[36:37], v[28:29], s[28:29]
	v_fma_f64 v[40:41], v[18:19], s[4:5], v[36:37]
	v_add_f64 v[66:67], v[40:41], v[34:35]
	v_fma_f64 v[34:35], v[22:23], s[4:5], v[38:39]
	v_add_f64 v[68:69], v[34:35], v[32:33]
	v_fma_f64 v[32:33], v[18:19], s[4:5], -v[36:37]
	v_add_f64 v[70:71], v[32:33], v[30:31]
	v_mul_f64 v[30:31], v[78:79], s[20:21]
	v_fma_f64 v[32:33], v[22:23], s[6:7], -v[30:31]
	v_fma_f64 v[22:23], v[22:23], s[6:7], v[30:31]
	v_add_f64 v[72:73], v[32:33], v[26:27]
	v_mul_f64 v[26:27], v[28:29], s[20:21]
	v_add_f64 v[76:77], v[22:23], v[20:21]
	v_add_f64 v[22:23], v[216:217], v[96:97]
	;; [unrolled: 1-line block ×3, first 2 shown]
	v_fma_f64 v[28:29], v[18:19], s[6:7], v[26:27]
	v_fma_f64 v[18:19], v[18:19], s[6:7], -v[26:27]
	v_add_f64 v[26:27], v[216:217], -v[96:97]
	v_add_f64 v[74:75], v[28:29], v[24:25]
	v_add_f64 v[78:79], v[18:19], v[16:17]
	;; [unrolled: 1-line block ×4, first 2 shown]
	v_add_f64 v[24:25], v[218:219], -v[102:103]
	v_mul_f64 v[28:29], v[26:27], s[24:25]
	v_mul_f64 v[36:37], v[26:27], s[36:37]
	;; [unrolled: 1-line block ×5, first 2 shown]
	v_add_f64 v[18:19], v[18:19], v[212:213]
	v_add_f64 v[16:17], v[16:17], v[214:215]
	v_mul_f64 v[32:33], v[24:25], s[24:25]
	v_mul_f64 v[40:41], v[24:25], s[36:37]
	;; [unrolled: 1-line block ×3, first 2 shown]
	v_fma_f64 v[30:31], v[20:21], s[0:1], -v[28:29]
	v_fma_f64 v[28:29], v[20:21], s[0:1], v[28:29]
	v_fma_f64 v[38:39], v[20:21], s[4:5], -v[36:37]
	v_fma_f64 v[36:37], v[20:21], s[4:5], v[36:37]
	;; [unrolled: 2-line block ×4, first 2 shown]
	v_add_f64 v[18:19], v[18:19], v[206:207]
	v_add_f64 v[16:17], v[16:17], v[208:209]
	v_fma_f64 v[34:35], v[22:23], s[0:1], v[32:33]
	v_fma_f64 v[32:33], v[22:23], s[0:1], -v[32:33]
	v_fma_f64 v[42:43], v[22:23], s[4:5], v[40:41]
	v_fma_f64 v[40:41], v[22:23], s[4:5], -v[40:41]
	v_fma_f64 v[90:91], v[22:23], s[6:7], v[88:89]
	v_fma_f64 v[88:89], v[22:23], s[6:7], -v[88:89]
	v_add_f64 v[30:31], v[80:81], v[30:31]
	v_add_f64 v[28:29], v[80:81], v[28:29]
	;; [unrolled: 1-line block ×27, first 2 shown]
	v_mul_f64 v[96:97], v[24:25], s[22:23]
	v_mul_f64 v[24:25], v[24:25], s[26:27]
	v_add_f64 v[16:17], v[16:17], v[102:103]
	v_fma_f64 v[102:103], v[20:21], s[18:19], -v[26:27]
	v_fma_f64 v[20:21], v[20:21], s[18:19], v[26:27]
	v_add_f64 v[26:27], v[212:213], v[100:101]
	v_fma_f64 v[98:99], v[22:23], s[16:17], v[96:97]
	v_fma_f64 v[96:97], v[22:23], s[16:17], -v[96:97]
	v_fma_f64 v[114:115], v[22:23], s[18:19], v[24:25]
	v_fma_f64 v[22:23], v[22:23], s[18:19], -v[24:25]
	v_add_f64 v[24:25], v[214:215], v[106:107]
	v_add_f64 v[102:103], v[80:81], v[102:103]
	;; [unrolled: 1-line block ×3, first 2 shown]
	v_add_f64 v[80:81], v[214:215], -v[106:107]
	v_add_f64 v[98:99], v[82:83], v[98:99]
	v_add_f64 v[96:97], v[82:83], v[96:97]
	;; [unrolled: 1-line block ×4, first 2 shown]
	v_add_f64 v[82:83], v[212:213], -v[100:101]
	v_mul_f64 v[100:101], v[82:83], s[36:37]
	v_fma_f64 v[106:107], v[24:25], s[4:5], -v[100:101]
	v_fma_f64 v[100:101], v[24:25], s[4:5], v[100:101]
	v_add_f64 v[30:31], v[106:107], v[30:31]
	v_mul_f64 v[106:107], v[80:81], s[36:37]
	v_add_f64 v[28:29], v[100:101], v[28:29]
	v_fma_f64 v[100:101], v[26:27], s[4:5], -v[106:107]
	v_fma_f64 v[138:139], v[26:27], s[4:5], v[106:107]
	v_add_f64 v[32:33], v[100:101], v[32:33]
	v_mul_f64 v[100:101], v[82:83], s[22:23]
	v_add_f64 v[34:35], v[138:139], v[34:35]
	;; [unrolled: 5-line block ×5, first 2 shown]
	v_fma_f64 v[100:101], v[26:27], s[18:19], -v[106:107]
	v_fma_f64 v[138:139], v[26:27], s[18:19], v[106:107]
	v_add_f64 v[88:89], v[100:101], v[88:89]
	v_mul_f64 v[100:101], v[82:83], s[34:35]
	v_mul_f64 v[82:83], v[82:83], s[30:31]
	v_add_f64 v[90:91], v[138:139], v[90:91]
	v_fma_f64 v[106:107], v[24:25], s[6:7], -v[100:101]
	v_fma_f64 v[100:101], v[24:25], s[6:7], v[100:101]
	v_add_f64 v[94:95], v[106:107], v[94:95]
	v_mul_f64 v[106:107], v[80:81], s[34:35]
	v_add_f64 v[92:93], v[100:101], v[92:93]
	v_mul_f64 v[80:81], v[80:81], s[30:31]
	v_fma_f64 v[100:101], v[26:27], s[6:7], -v[106:107]
	v_fma_f64 v[138:139], v[26:27], s[6:7], v[106:107]
	v_add_f64 v[96:97], v[100:101], v[96:97]
	v_fma_f64 v[100:101], v[24:25], s[0:1], -v[82:83]
	v_fma_f64 v[24:25], v[24:25], s[0:1], v[82:83]
	v_add_f64 v[82:83], v[206:207], -v[104:105]
	v_add_f64 v[98:99], v[138:139], v[98:99]
	v_add_f64 v[100:101], v[100:101], v[102:103]
	;; [unrolled: 1-line block ×3, first 2 shown]
	v_fma_f64 v[24:25], v[26:27], s[0:1], -v[80:81]
	v_fma_f64 v[102:103], v[26:27], s[0:1], v[80:81]
	v_add_f64 v[26:27], v[206:207], v[104:105]
	v_mul_f64 v[104:105], v[82:83], s[20:21]
	v_add_f64 v[80:81], v[208:209], -v[112:113]
	v_add_f64 v[22:23], v[24:25], v[22:23]
	v_add_f64 v[24:25], v[208:209], v[112:113]
	;; [unrolled: 1-line block ×3, first 2 shown]
	v_fma_f64 v[106:107], v[24:25], s[6:7], -v[104:105]
	v_fma_f64 v[104:105], v[24:25], s[6:7], v[104:105]
	v_add_f64 v[30:31], v[106:107], v[30:31]
	v_mul_f64 v[106:107], v[80:81], s[20:21]
	v_add_f64 v[28:29], v[104:105], v[28:29]
	v_fma_f64 v[104:105], v[26:27], s[6:7], -v[106:107]
	v_fma_f64 v[112:113], v[26:27], s[6:7], v[106:107]
	v_add_f64 v[32:33], v[104:105], v[32:33]
	v_mul_f64 v[104:105], v[82:83], s[38:39]
	v_add_f64 v[34:35], v[112:113], v[34:35]
	;; [unrolled: 5-line block ×5, first 2 shown]
	v_fma_f64 v[104:105], v[26:27], s[4:5], -v[106:107]
	v_fma_f64 v[112:113], v[26:27], s[4:5], v[106:107]
	v_add_f64 v[88:89], v[104:105], v[88:89]
	v_mul_f64 v[104:105], v[82:83], s[24:25]
	v_mul_f64 v[82:83], v[82:83], s[22:23]
	v_add_f64 v[90:91], v[112:113], v[90:91]
	v_fma_f64 v[106:107], v[24:25], s[0:1], -v[104:105]
	v_fma_f64 v[104:105], v[24:25], s[0:1], v[104:105]
	v_add_f64 v[94:95], v[106:107], v[94:95]
	v_mul_f64 v[106:107], v[80:81], s[24:25]
	v_add_f64 v[92:93], v[104:105], v[92:93]
	v_mul_f64 v[80:81], v[80:81], s[22:23]
	v_fma_f64 v[104:105], v[26:27], s[0:1], -v[106:107]
	v_fma_f64 v[112:113], v[26:27], s[0:1], v[106:107]
	v_add_f64 v[96:97], v[104:105], v[96:97]
	v_fma_f64 v[104:105], v[24:25], s[16:17], -v[82:83]
	v_fma_f64 v[24:25], v[24:25], s[16:17], v[82:83]
	v_add_f64 v[82:83], v[120:121], -v[110:111]
	v_add_f64 v[98:99], v[112:113], v[98:99]
	v_add_f64 v[100:101], v[104:105], v[100:101]
	v_fma_f64 v[104:105], v[26:27], s[16:17], v[80:81]
	v_add_f64 v[20:21], v[24:25], v[20:21]
	v_fma_f64 v[24:25], v[26:27], s[16:17], -v[80:81]
	v_add_f64 v[80:81], v[204:205], -v[210:211]
	v_add_f64 v[26:27], v[120:121], v[110:111]
	v_add_f64 v[102:103], v[104:105], v[102:103]
	v_mul_f64 v[104:105], v[82:83], s[22:23]
	v_add_f64 v[22:23], v[24:25], v[22:23]
	v_add_f64 v[24:25], v[204:205], v[210:211]
	v_fma_f64 v[106:107], v[24:25], s[16:17], -v[104:105]
	v_add_f64 v[106:107], v[106:107], v[30:31]
	v_mul_f64 v[30:31], v[80:81], s[22:23]
	v_fma_f64 v[110:111], v[26:27], s[16:17], v[30:31]
	v_add_f64 v[110:111], v[110:111], v[34:35]
	v_fma_f64 v[34:35], v[24:25], s[16:17], v[104:105]
	v_add_f64 v[104:105], v[34:35], v[28:29]
	v_fma_f64 v[28:29], v[26:27], s[16:17], -v[30:31]
	v_add_f64 v[112:113], v[28:29], v[32:33]
	v_mul_f64 v[28:29], v[82:83], s[34:35]
	v_fma_f64 v[30:31], v[24:25], s[6:7], -v[28:29]
	v_fma_f64 v[28:29], v[24:25], s[6:7], v[28:29]
	v_add_f64 v[114:115], v[30:31], v[38:39]
	v_mul_f64 v[30:31], v[80:81], s[34:35]
	v_add_f64 v[120:121], v[28:29], v[36:37]
	v_fma_f64 v[28:29], v[26:27], s[6:7], -v[30:31]
	v_fma_f64 v[32:33], v[26:27], s[6:7], v[30:31]
	v_add_f64 v[138:139], v[28:29], v[40:41]
	v_mul_f64 v[28:29], v[82:83], s[24:25]
	v_add_f64 v[42:43], v[32:33], v[42:43]
	;; [unrolled: 5-line block ×5, first 2 shown]
	v_mul_f64 v[80:81], v[80:81], s[28:29]
	v_fma_f64 v[32:33], v[26:27], s[18:19], v[30:31]
	v_fma_f64 v[28:29], v[26:27], s[18:19], -v[30:31]
	v_add_f64 v[38:39], v[32:33], v[98:99]
	v_mul_f64 v[32:33], v[82:83], s[28:29]
	v_add_f64 v[34:35], v[28:29], v[96:97]
	v_fma_f64 v[28:29], v[24:25], s[4:5], -v[32:33]
	v_fma_f64 v[24:25], v[24:25], s[4:5], v[32:33]
	v_add_f64 v[32:33], v[122:123], -v[118:119]
	v_add_f64 v[30:31], v[28:29], v[100:101]
	v_add_f64 v[24:25], v[24:25], v[20:21]
	v_fma_f64 v[20:21], v[26:27], s[4:5], -v[80:81]
	v_mul_f64 v[94:95], v[32:33], s[30:31]
	v_fma_f64 v[28:29], v[26:27], s[4:5], v[80:81]
	v_add_f64 v[26:27], v[122:123], v[118:119]
	v_add_f64 v[20:21], v[20:21], v[22:23]
	;; [unrolled: 1-line block ×3, first 2 shown]
	v_add_f64 v[116:117], v[116:117], -v[108:109]
	v_add_f64 v[28:29], v[28:29], v[102:103]
	v_mul_f64 v[102:103], v[32:33], s[22:23]
	v_fma_f64 v[90:91], v[22:23], s[0:1], v[94:95]
	v_mul_f64 v[92:93], v[116:117], s[30:31]
	v_mul_f64 v[80:81], v[116:117], s[26:27]
	v_fma_f64 v[98:99], v[22:23], s[16:17], v[102:103]
	v_add_f64 v[90:91], v[90:91], v[42:43]
	v_fma_f64 v[42:43], v[26:27], s[0:1], v[92:93]
	v_fma_f64 v[88:89], v[26:27], s[0:1], -v[92:93]
	v_fma_f64 v[82:83], v[26:27], s[18:19], -v[80:81]
	v_fma_f64 v[80:81], v[26:27], s[18:19], v[80:81]
	v_add_f64 v[98:99], v[98:99], v[144:145]
	v_add_f64 v[92:93], v[42:43], v[120:121]
	v_fma_f64 v[42:43], v[22:23], s[0:1], -v[94:95]
	v_add_f64 v[84:85], v[82:83], v[106:107]
	v_add_f64 v[80:81], v[80:81], v[104:105]
	v_mul_f64 v[82:83], v[32:33], s[26:27]
	v_add_f64 v[88:89], v[88:89], v[114:115]
	v_add_f64 v[94:95], v[42:43], v[138:139]
	v_mul_f64 v[42:43], v[116:117], s[22:23]
	v_fma_f64 v[86:87], v[22:23], s[18:19], v[82:83]
	v_fma_f64 v[82:83], v[22:23], s[18:19], -v[82:83]
	v_fma_f64 v[96:97], v[26:27], s[16:17], -v[42:43]
	v_fma_f64 v[42:43], v[26:27], s[16:17], v[42:43]
	v_add_f64 v[86:87], v[86:87], v[110:111]
	v_add_f64 v[82:83], v[82:83], v[112:113]
	;; [unrolled: 1-line block ×4, first 2 shown]
	v_fma_f64 v[42:43], v[22:23], s[16:17], -v[102:103]
	v_add_f64 v[102:103], v[42:43], v[206:207]
	v_mul_f64 v[42:43], v[116:117], s[28:29]
	v_fma_f64 v[104:105], v[26:27], s[4:5], -v[42:43]
	v_add_f64 v[104:105], v[104:105], v[40:41]
	v_mul_f64 v[40:41], v[32:33], s[28:29]
	v_fma_f64 v[106:107], v[22:23], s[4:5], v[40:41]
	v_add_f64 v[106:107], v[106:107], v[38:39]
	v_fma_f64 v[38:39], v[26:27], s[4:5], v[42:43]
	v_add_f64 v[108:109], v[38:39], v[36:37]
	v_fma_f64 v[36:37], v[22:23], s[4:5], -v[40:41]
	v_add_f64 v[110:111], v[36:37], v[34:35]
	v_mul_f64 v[34:35], v[116:117], s[20:21]
	v_fma_f64 v[36:37], v[26:27], s[6:7], -v[34:35]
	v_fma_f64 v[26:27], v[26:27], s[6:7], v[34:35]
	v_add_f64 v[112:113], v[36:37], v[30:31]
	v_mul_f64 v[30:31], v[32:33], s[20:21]
	v_add_f64 v[116:117], v[26:27], v[24:25]
	v_add_f64 v[26:27], v[196:197], -v[200:201]
	v_add_f64 v[24:25], v[198:199], -v[202:203]
	v_fma_f64 v[32:33], v[22:23], s[6:7], v[30:31]
	v_fma_f64 v[22:23], v[22:23], s[6:7], -v[30:31]
	v_mul_f64 v[36:37], v[26:27], s[36:37]
	v_mul_f64 v[138:139], v[26:27], s[20:21]
	;; [unrolled: 1-line block ×4, first 2 shown]
	v_add_f64 v[114:115], v[32:33], v[28:29]
	v_add_f64 v[118:119], v[22:23], v[20:21]
	;; [unrolled: 1-line block ×4, first 2 shown]
	v_mul_f64 v[28:29], v[26:27], s[24:25]
	v_mul_f64 v[32:33], v[24:25], s[24:25]
	v_add_f64 v[20:21], v[20:21], v[188:189]
	v_add_f64 v[22:23], v[22:23], v[186:187]
	v_add_f64 v[20:21], v[20:21], v[184:185]
	v_add_f64 v[22:23], v[22:23], v[178:179]
	v_add_f64 v[20:21], v[20:21], v[176:177]
	v_add_f64 v[22:23], v[22:23], v[132:133]
	v_add_f64 v[20:21], v[20:21], v[128:129]
	v_add_f64 v[22:23], v[22:23], v[124:125]
	v_add_f64 v[20:21], v[20:21], v[130:131]
	v_add_f64 v[22:23], v[22:23], v[126:127]
	v_add_f64 v[20:21], v[20:21], v[180:181]
	v_add_f64 v[22:23], v[22:23], v[134:135]
	v_add_f64 v[20:21], v[20:21], v[190:191]
	v_add_f64 v[22:23], v[22:23], v[182:183]
	v_add_f64 v[20:21], v[20:21], v[194:195]
	v_add_f64 v[22:23], v[22:23], v[192:193]
	v_add_f64 v[120:121], v[20:21], v[202:203]
	v_add_f64 v[20:21], v[198:199], v[202:203]
	v_mul_f64 v[198:199], v[26:27], s[22:23]
	v_mul_f64 v[26:27], v[26:27], s[26:27]
	v_add_f64 v[122:123], v[22:23], v[200:201]
	v_add_f64 v[22:23], v[196:197], v[200:201]
	v_mul_f64 v[202:203], v[24:25], s[22:23]
	v_mul_f64 v[24:25], v[24:25], s[26:27]
	v_fma_f64 v[30:31], v[20:21], s[0:1], -v[28:29]
	v_fma_f64 v[28:29], v[20:21], s[0:1], v[28:29]
	v_fma_f64 v[38:39], v[20:21], s[4:5], -v[36:37]
	v_fma_f64 v[36:37], v[20:21], s[4:5], v[36:37]
	;; [unrolled: 2-line block ×5, first 2 shown]
	v_fma_f64 v[34:35], v[22:23], s[0:1], v[32:33]
	v_fma_f64 v[32:33], v[22:23], s[0:1], -v[32:33]
	v_fma_f64 v[42:43], v[22:23], s[4:5], v[40:41]
	v_fma_f64 v[40:41], v[22:23], s[4:5], -v[40:41]
	;; [unrolled: 2-line block ×4, first 2 shown]
	v_fma_f64 v[208:209], v[22:23], s[18:19], v[24:25]
	v_add_f64 v[26:27], v[186:187], -v[192:193]
	v_add_f64 v[30:31], v[8:9], v[30:31]
	v_add_f64 v[28:29], v[8:9], v[28:29]
	;; [unrolled: 1-line block ×10, first 2 shown]
	v_fma_f64 v[20:21], v[22:23], s[18:19], -v[24:25]
	v_add_f64 v[34:35], v[10:11], v[34:35]
	v_add_f64 v[32:33], v[10:11], v[32:33]
	;; [unrolled: 1-line block ×10, first 2 shown]
	v_mul_f64 v[186:187], v[26:27], s[36:37]
	v_add_f64 v[24:25], v[188:189], -v[194:195]
	v_add_f64 v[10:11], v[10:11], v[20:21]
	v_add_f64 v[20:21], v[188:189], v[194:195]
	v_mul_f64 v[194:195], v[24:25], s[34:35]
	v_fma_f64 v[188:189], v[20:21], s[4:5], -v[186:187]
	v_fma_f64 v[186:187], v[20:21], s[4:5], v[186:187]
	v_add_f64 v[30:31], v[188:189], v[30:31]
	v_mul_f64 v[188:189], v[24:25], s[36:37]
	v_add_f64 v[28:29], v[186:187], v[28:29]
	v_fma_f64 v[186:187], v[22:23], s[4:5], -v[188:189]
	v_fma_f64 v[192:193], v[22:23], s[4:5], v[188:189]
	v_add_f64 v[32:33], v[186:187], v[32:33]
	v_mul_f64 v[186:187], v[26:27], s[22:23]
	v_add_f64 v[34:35], v[192:193], v[34:35]
	;; [unrolled: 5-line block ×5, first 2 shown]
	v_mul_f64 v[24:25], v[24:25], s[30:31]
	v_fma_f64 v[186:187], v[22:23], s[18:19], -v[188:189]
	v_fma_f64 v[192:193], v[22:23], s[18:19], v[188:189]
	v_add_f64 v[144:145], v[186:187], v[144:145]
	v_mul_f64 v[186:187], v[26:27], s[34:35]
	v_mul_f64 v[26:27], v[26:27], s[30:31]
	v_add_f64 v[192:193], v[192:193], v[196:197]
	v_fma_f64 v[196:197], v[22:23], s[6:7], v[194:195]
	v_fma_f64 v[194:195], v[22:23], s[6:7], -v[194:195]
	v_fma_f64 v[188:189], v[20:21], s[6:7], -v[186:187]
	v_fma_f64 v[186:187], v[20:21], s[6:7], v[186:187]
	v_add_f64 v[196:197], v[196:197], v[204:205]
	v_add_f64 v[194:195], v[194:195], v[202:203]
	;; [unrolled: 1-line block ×4, first 2 shown]
	v_fma_f64 v[198:199], v[20:21], s[0:1], -v[26:27]
	v_fma_f64 v[20:21], v[20:21], s[0:1], v[26:27]
	v_add_f64 v[26:27], v[178:179], -v[182:183]
	v_fma_f64 v[200:201], v[22:23], s[0:1], v[24:25]
	v_add_f64 v[198:199], v[198:199], v[206:207]
	v_add_f64 v[8:9], v[20:21], v[8:9]
	v_fma_f64 v[20:21], v[22:23], s[0:1], -v[24:25]
	v_add_f64 v[22:23], v[178:179], v[182:183]
	v_mul_f64 v[178:179], v[26:27], s[20:21]
	v_add_f64 v[24:25], v[184:185], -v[190:191]
	v_add_f64 v[200:201], v[200:201], v[208:209]
	v_add_f64 v[10:11], v[20:21], v[10:11]
	;; [unrolled: 1-line block ×3, first 2 shown]
	v_fma_f64 v[182:183], v[20:21], s[6:7], -v[178:179]
	v_fma_f64 v[178:179], v[20:21], s[6:7], v[178:179]
	v_add_f64 v[30:31], v[182:183], v[30:31]
	v_mul_f64 v[182:183], v[24:25], s[20:21]
	v_add_f64 v[28:29], v[178:179], v[28:29]
	v_fma_f64 v[178:179], v[22:23], s[6:7], -v[182:183]
	v_fma_f64 v[184:185], v[22:23], s[6:7], v[182:183]
	v_add_f64 v[32:33], v[178:179], v[32:33]
	v_mul_f64 v[178:179], v[26:27], s[38:39]
	v_add_f64 v[34:35], v[184:185], v[34:35]
	;; [unrolled: 5-line block ×5, first 2 shown]
	v_fma_f64 v[178:179], v[22:23], s[4:5], -v[182:183]
	v_fma_f64 v[184:185], v[22:23], s[4:5], v[182:183]
	v_add_f64 v[144:145], v[178:179], v[144:145]
	v_mul_f64 v[178:179], v[26:27], s[24:25]
	v_mul_f64 v[26:27], v[26:27], s[22:23]
	v_add_f64 v[184:185], v[184:185], v[192:193]
	v_fma_f64 v[182:183], v[20:21], s[0:1], -v[178:179]
	v_fma_f64 v[178:179], v[20:21], s[0:1], v[178:179]
	v_add_f64 v[182:183], v[182:183], v[188:189]
	v_mul_f64 v[188:189], v[24:25], s[24:25]
	v_add_f64 v[178:179], v[178:179], v[186:187]
	v_mul_f64 v[24:25], v[24:25], s[22:23]
	v_fma_f64 v[190:191], v[22:23], s[0:1], v[188:189]
	v_fma_f64 v[186:187], v[22:23], s[0:1], -v[188:189]
	v_fma_f64 v[188:189], v[20:21], s[16:17], -v[26:27]
	v_fma_f64 v[20:21], v[20:21], s[16:17], v[26:27]
	v_add_f64 v[26:27], v[132:133], -v[134:135]
	v_fma_f64 v[192:193], v[22:23], s[16:17], v[24:25]
	v_add_f64 v[190:191], v[190:191], v[196:197]
	v_add_f64 v[186:187], v[186:187], v[194:195]
	;; [unrolled: 1-line block ×4, first 2 shown]
	v_fma_f64 v[20:21], v[22:23], s[16:17], -v[24:25]
	v_add_f64 v[22:23], v[132:133], v[134:135]
	v_mul_f64 v[132:133], v[26:27], s[22:23]
	v_add_f64 v[24:25], v[176:177], -v[180:181]
	v_add_f64 v[192:193], v[192:193], v[200:201]
	v_add_f64 v[10:11], v[20:21], v[10:11]
	v_add_f64 v[20:21], v[176:177], v[180:181]
	v_fma_f64 v[134:135], v[20:21], s[16:17], -v[132:133]
	v_fma_f64 v[132:133], v[20:21], s[16:17], v[132:133]
	v_add_f64 v[30:31], v[134:135], v[30:31]
	v_mul_f64 v[134:135], v[24:25], s[22:23]
	v_add_f64 v[28:29], v[132:133], v[28:29]
	v_fma_f64 v[132:133], v[22:23], s[16:17], -v[134:135]
	v_fma_f64 v[176:177], v[22:23], s[16:17], v[134:135]
	v_add_f64 v[32:33], v[132:133], v[32:33]
	v_mul_f64 v[132:133], v[26:27], s[34:35]
	v_add_f64 v[34:35], v[176:177], v[34:35]
	v_fma_f64 v[134:135], v[20:21], s[6:7], -v[132:133]
	v_add_f64 v[38:39], v[134:135], v[38:39]
	v_mul_f64 v[134:135], v[24:25], s[34:35]
	v_fma_f64 v[176:177], v[22:23], s[6:7], v[134:135]
	v_add_f64 v[194:195], v[176:177], v[42:43]
	v_fma_f64 v[42:43], v[20:21], s[6:7], v[132:133]
	v_add_f64 v[36:37], v[42:43], v[36:37]
	v_fma_f64 v[42:43], v[22:23], s[6:7], -v[134:135]
	v_mul_f64 v[134:135], v[24:25], s[26:27]
	v_add_f64 v[196:197], v[42:43], v[40:41]
	v_mul_f64 v[40:41], v[26:27], s[24:25]
	v_fma_f64 v[42:43], v[20:21], s[0:1], -v[40:41]
	v_fma_f64 v[40:41], v[20:21], s[0:1], v[40:41]
	v_add_f64 v[198:199], v[42:43], v[140:141]
	v_mul_f64 v[42:43], v[24:25], s[24:25]
	v_add_f64 v[200:201], v[40:41], v[138:139]
	v_mul_f64 v[24:25], v[24:25], s[28:29]
	v_add_f64 v[140:141], v[128:129], v[130:131]
	v_add_f64 v[130:131], v[128:129], -v[130:131]
	v_add_f64 v[128:129], v[124:125], -v[126:127]
	v_add_f64 v[138:139], v[124:125], v[126:127]
	v_fma_f64 v[132:133], v[22:23], s[0:1], v[42:43]
	v_fma_f64 v[40:41], v[22:23], s[0:1], -v[42:43]
	v_fma_f64 v[42:43], v[22:23], s[18:19], v[134:135]
	v_mul_f64 v[124:125], v[128:129], s[28:29]
	v_add_f64 v[184:185], v[132:133], v[184:185]
	v_mul_f64 v[132:133], v[26:27], s[26:27]
	v_add_f64 v[144:145], v[40:41], v[144:145]
	;; [unrolled: 2-line block ×3, first 2 shown]
	v_fma_f64 v[126:127], v[140:141], s[4:5], -v[124:125]
	v_fma_f64 v[124:125], v[140:141], s[4:5], v[124:125]
	v_mul_f64 v[190:191], v[222:223], s[36:37]
	v_fma_f64 v[40:41], v[20:21], s[18:19], -v[132:133]
	v_fma_f64 v[132:133], v[20:21], s[18:19], v[132:133]
	v_add_f64 v[40:41], v[40:41], v[182:183]
	v_add_f64 v[182:183], v[132:133], v[178:179]
	v_fma_f64 v[132:133], v[22:23], s[18:19], -v[134:135]
	v_add_f64 v[40:41], v[126:127], v[40:41]
	v_mul_f64 v[126:127], v[130:131], s[28:29]
	v_add_f64 v[180:181], v[132:133], v[186:187]
	v_fma_f64 v[132:133], v[20:21], s[4:5], -v[26:27]
	v_fma_f64 v[20:21], v[20:21], s[4:5], v[26:27]
	v_add_f64 v[124:125], v[124:125], v[182:183]
	v_add_f64 v[178:179], v[132:133], v[188:189]
	v_fma_f64 v[132:133], v[22:23], s[4:5], v[24:25]
	v_add_f64 v[176:177], v[132:133], v[192:193]
	v_add_f64 v[132:133], v[20:21], v[8:9]
	v_fma_f64 v[8:9], v[22:23], s[4:5], -v[24:25]
	v_add_f64 v[134:135], v[8:9], v[10:11]
	v_mul_f64 v[8:9], v[128:129], s[26:27]
	v_fma_f64 v[10:11], v[140:141], s[18:19], -v[8:9]
	v_fma_f64 v[8:9], v[140:141], s[18:19], v[8:9]
	v_add_f64 v[20:21], v[10:11], v[30:31]
	v_add_f64 v[8:9], v[8:9], v[28:29]
	v_mul_f64 v[28:29], v[128:129], s[30:31]
	v_mul_f64 v[10:11], v[130:131], s[26:27]
	v_mul_f64 v[30:31], v[130:131], s[30:31]
	v_fma_f64 v[24:25], v[140:141], s[0:1], -v[28:29]
	v_fma_f64 v[22:23], v[138:139], s[18:19], v[10:11]
	v_fma_f64 v[28:29], v[140:141], s[0:1], v[28:29]
	v_fma_f64 v[10:11], v[138:139], s[18:19], -v[10:11]
	v_fma_f64 v[26:27], v[138:139], s[0:1], v[30:31]
	v_fma_f64 v[30:31], v[138:139], s[0:1], -v[30:31]
	v_add_f64 v[24:25], v[24:25], v[38:39]
	v_mul_f64 v[38:39], v[130:131], s[22:23]
	v_add_f64 v[22:23], v[22:23], v[34:35]
	v_add_f64 v[28:29], v[28:29], v[36:37]
	v_mul_f64 v[36:37], v[128:129], s[22:23]
	v_add_f64 v[10:11], v[10:11], v[32:33]
	v_add_f64 v[26:27], v[26:27], v[194:195]
	;; [unrolled: 1-line block ×3, first 2 shown]
	v_fma_f64 v[34:35], v[138:139], s[16:17], v[38:39]
	v_fma_f64 v[38:39], v[138:139], s[16:17], -v[38:39]
	v_fma_f64 v[32:33], v[140:141], s[16:17], -v[36:37]
	v_fma_f64 v[36:37], v[140:141], s[16:17], v[36:37]
	v_add_f64 v[34:35], v[34:35], v[184:185]
	v_add_f64 v[38:39], v[38:39], v[144:145]
	v_fma_f64 v[144:145], v[138:139], s[4:5], v[126:127]
	v_fma_f64 v[126:127], v[138:139], s[4:5], -v[126:127]
	v_add_f64 v[32:33], v[32:33], v[198:199]
	v_add_f64 v[36:37], v[36:37], v[200:201]
	;; [unrolled: 1-line block ×3, first 2 shown]
	v_mul_f64 v[144:145], v[128:129], s[20:21]
	v_add_f64 v[126:127], v[126:127], v[180:181]
	v_fma_f64 v[128:129], v[140:141], s[6:7], -v[144:145]
	v_fma_f64 v[140:141], v[140:141], s[6:7], v[144:145]
	v_add_f64 v[128:129], v[128:129], v[178:179]
	v_mul_f64 v[178:179], v[130:131], s[20:21]
	v_add_f64 v[132:133], v[140:141], v[132:133]
	v_add_f64 v[140:141], v[136:137], -v[168:169]
	v_fma_f64 v[130:131], v[138:139], s[6:7], v[178:179]
	v_fma_f64 v[138:139], v[138:139], s[6:7], -v[178:179]
	v_add_f64 v[178:179], v[136:137], v[168:169]
	v_mul_f64 v[180:181], v[140:141], s[24:25]
	v_mov_b32_e32 v136, v152
	v_mov_b32_e32 v137, v153
	;; [unrolled: 1-line block ×4, first 2 shown]
	v_add_f64 v[130:131], v[130:131], v[176:177]
	v_add_f64 v[134:135], v[138:139], v[134:135]
	v_add_f64 v[138:139], v[142:143], -v[4:5]
	v_add_f64 v[176:177], v[142:143], v[4:5]
	v_mov_b32_e32 v4, v174
	v_mov_b32_e32 v5, v175
	;; [unrolled: 1-line block ×4, first 2 shown]
	v_mul_f64 v[182:183], v[138:139], s[24:25]
	v_fma_f64 v[144:145], v[176:177], s[0:1], v[180:181]
	v_fma_f64 v[184:185], v[178:179], s[0:1], -v[182:183]
	v_add_f64 v[144:145], v[0:1], v[144:145]
	v_add_f64 v[192:193], v[2:3], v[184:185]
	v_mul_f64 v[184:185], v[140:141], s[36:37]
	v_fma_f64 v[186:187], v[176:177], s[4:5], -v[184:185]
	v_fma_f64 v[184:185], v[176:177], s[4:5], v[184:185]
	v_add_f64 v[194:195], v[0:1], v[186:187]
	v_mul_f64 v[186:187], v[138:139], s[36:37]
	v_add_f64 v[198:199], v[0:1], v[184:185]
	v_fma_f64 v[184:185], v[178:179], s[4:5], -v[186:187]
	v_fma_f64 v[188:189], v[178:179], s[4:5], v[186:187]
	v_add_f64 v[200:201], v[2:3], v[184:185]
	v_mul_f64 v[184:185], v[140:141], s[20:21]
	v_add_f64 v[196:197], v[2:3], v[188:189]
	v_fma_f64 v[186:187], v[176:177], s[6:7], -v[184:185]
	v_fma_f64 v[184:185], v[176:177], s[6:7], v[184:185]
	v_add_f64 v[202:203], v[0:1], v[186:187]
	v_mul_f64 v[186:187], v[138:139], s[20:21]
	v_add_f64 v[206:207], v[0:1], v[184:185]
	v_fma_f64 v[184:185], v[178:179], s[6:7], -v[186:187]
	v_fma_f64 v[188:189], v[178:179], s[6:7], v[186:187]
	v_add_f64 v[208:209], v[2:3], v[184:185]
	v_mul_f64 v[184:185], v[140:141], s[22:23]
	v_mul_f64 v[140:141], v[140:141], s[26:27]
	v_add_f64 v[204:205], v[2:3], v[188:189]
	v_fma_f64 v[186:187], v[176:177], s[16:17], -v[184:185]
	v_fma_f64 v[184:185], v[176:177], s[16:17], v[184:185]
	v_add_f64 v[210:211], v[0:1], v[186:187]
	v_mul_f64 v[186:187], v[138:139], s[22:23]
	v_add_f64 v[214:215], v[0:1], v[184:185]
	v_mul_f64 v[138:139], v[138:139], s[26:27]
	v_fma_f64 v[184:185], v[178:179], s[16:17], -v[186:187]
	v_fma_f64 v[188:189], v[178:179], s[16:17], v[186:187]
	v_add_f64 v[186:187], v[148:149], v[162:163]
	v_mov_b32_e32 v163, v159
	v_mov_b32_e32 v162, v158
	v_add_f64 v[216:217], v[2:3], v[184:185]
	v_fma_f64 v[184:185], v[176:177], s[18:19], -v[140:141]
	v_add_f64 v[212:213], v[2:3], v[188:189]
	v_mul_f64 v[188:189], v[224:225], s[36:37]
	v_fma_f64 v[140:141], v[176:177], s[18:19], v[140:141]
	v_add_f64 v[218:219], v[0:1], v[184:185]
	v_fma_f64 v[184:185], v[178:179], s[18:19], v[138:139]
	v_fma_f64 v[138:139], v[178:179], s[18:19], -v[138:139]
	v_add_f64 v[140:141], v[0:1], v[140:141]
	v_add_f64 v[220:221], v[2:3], v[184:185]
	;; [unrolled: 1-line block ×4, first 2 shown]
	v_mov_b32_e32 v151, v149
	v_mov_b32_e32 v150, v148
	v_fma_f64 v[226:227], v[184:185], s[4:5], v[188:189]
	v_add_f64 v[144:145], v[226:227], v[144:145]
	v_fma_f64 v[226:227], v[186:187], s[4:5], -v[190:191]
	v_add_f64 v[226:227], v[226:227], v[192:193]
	v_mul_f64 v[192:193], v[224:225], s[22:23]
	v_fma_f64 v[228:229], v[184:185], s[16:17], -v[192:193]
	v_fma_f64 v[192:193], v[184:185], s[16:17], v[192:193]
	v_add_f64 v[228:229], v[228:229], v[194:195]
	v_mul_f64 v[194:195], v[222:223], s[22:23]
	v_add_f64 v[234:235], v[192:193], v[198:199]
	v_fma_f64 v[192:193], v[186:187], s[16:17], -v[194:195]
	v_fma_f64 v[232:233], v[186:187], s[16:17], v[194:195]
	v_add_f64 v[200:201], v[192:193], v[200:201]
	v_mul_f64 v[192:193], v[224:225], s[38:39]
	v_add_f64 v[232:233], v[232:233], v[196:197]
	;; [unrolled: 5-line block ×6, first 2 shown]
	v_add_f64 v[224:225], v[154:155], -v[164:165]
	v_fma_f64 v[194:195], v[184:185], s[0:1], -v[192:193]
	v_fma_f64 v[192:193], v[184:185], s[0:1], v[192:193]
	v_add_f64 v[218:219], v[194:195], v[218:219]
	v_mul_f64 v[194:195], v[222:223], s[30:31]
	v_add_f64 v[140:141], v[192:193], v[140:141]
	v_add_f64 v[222:223], v[152:153], -v[158:159]
	v_fma_f64 v[196:197], v[186:187], s[0:1], v[194:195]
	v_fma_f64 v[192:193], v[186:187], s[0:1], -v[194:195]
	v_add_f64 v[194:195], v[154:155], v[164:165]
	v_mul_f64 v[198:199], v[222:223], s[20:21]
	v_mov_b32_e32 v164, v166
	v_mov_b32_e32 v165, v167
	v_add_f64 v[220:221], v[196:197], v[220:221]
	v_add_f64 v[138:139], v[192:193], v[138:139]
	;; [unrolled: 1-line block ×3, first 2 shown]
	v_mul_f64 v[196:197], v[224:225], s[20:21]
	s_clause 0x1
	buffer_load_dword v152, off, s[40:43], 0 offset:1412
	buffer_load_dword v153, off, s[40:43], 0 offset:1416
	v_mov_b32_e32 v158, v160
	v_mov_b32_e32 v159, v161
	v_fma_f64 v[236:237], v[192:193], s[6:7], v[196:197]
	v_add_f64 v[144:145], v[236:237], v[144:145]
	v_fma_f64 v[236:237], v[194:195], s[6:7], -v[198:199]
	v_add_f64 v[226:227], v[236:237], v[226:227]
	v_mul_f64 v[236:237], v[224:225], s[38:39]
	v_fma_f64 v[238:239], v[192:193], s[18:19], -v[236:237]
	v_fma_f64 v[236:237], v[192:193], s[18:19], v[236:237]
	v_add_f64 v[228:229], v[238:239], v[228:229]
	v_mul_f64 v[238:239], v[222:223], s[38:39]
	v_add_f64 v[234:235], v[236:237], v[234:235]
	v_fma_f64 v[236:237], v[194:195], s[18:19], -v[238:239]
	v_fma_f64 v[240:241], v[194:195], s[18:19], v[238:239]
	v_add_f64 v[236:237], v[236:237], v[200:201]
	v_mul_f64 v[200:201], v[224:225], s[28:29]
	v_add_f64 v[232:233], v[240:241], v[232:233]
	;; [unrolled: 5-line block ×5, first 2 shown]
	v_fma_f64 v[200:201], v[194:195], s[0:1], -v[202:203]
	v_fma_f64 v[204:205], v[194:195], s[0:1], v[202:203]
	s_waitcnt vmcnt(0)
	v_add_f64 v[244:245], v[152:153], -v[166:167]
	v_add_f64 v[216:217], v[200:201], v[216:217]
	v_mul_f64 v[200:201], v[224:225], s[22:23]
	v_add_f64 v[212:213], v[204:205], v[212:213]
	v_mul_f64 v[206:207], v[244:245], s[22:23]
	v_fma_f64 v[202:203], v[192:193], s[16:17], -v[200:201]
	v_fma_f64 v[200:201], v[192:193], s[16:17], v[200:201]
	v_add_f64 v[218:219], v[202:203], v[218:219]
	v_mul_f64 v[202:203], v[222:223], s[22:23]
	v_add_f64 v[140:141], v[200:201], v[140:141]
	v_fma_f64 v[204:205], v[194:195], s[16:17], v[202:203]
	v_fma_f64 v[200:201], v[194:195], s[16:17], -v[202:203]
	v_add_f64 v[202:203], v[160:161], v[172:173]
	v_add_f64 v[220:221], v[204:205], v[220:221]
	;; [unrolled: 1-line block ×4, first 2 shown]
	v_mul_f64 v[204:205], v[246:247], s[22:23]
	v_mov_b32_e32 v166, v170
	v_mov_b32_e32 v167, v171
	;; [unrolled: 1-line block ×4, first 2 shown]
	s_clause 0x3
	buffer_load_dword v172, off, s[40:43], 0 offset:1396
	buffer_load_dword v173, off, s[40:43], 0 offset:1400
	;; [unrolled: 1-line block ×4, first 2 shown]
	v_fma_f64 v[222:223], v[200:201], s[16:17], v[204:205]
	v_add_f64 v[144:145], v[222:223], v[144:145]
	v_fma_f64 v[222:223], v[202:203], s[16:17], -v[206:207]
	v_add_f64 v[248:249], v[222:223], v[226:227]
	v_mul_f64 v[222:223], v[246:247], s[34:35]
	v_fma_f64 v[224:225], v[200:201], s[6:7], -v[222:223]
	v_fma_f64 v[222:223], v[200:201], s[6:7], v[222:223]
	v_add_f64 v[250:251], v[224:225], v[228:229]
	v_mul_f64 v[224:225], v[244:245], s[34:35]
	v_add_f64 v[234:235], v[222:223], v[234:235]
	v_fma_f64 v[222:223], v[202:203], s[6:7], -v[224:225]
	v_fma_f64 v[226:227], v[202:203], s[6:7], v[224:225]
	v_add_f64 v[236:237], v[222:223], v[236:237]
	v_mul_f64 v[222:223], v[246:247], s[24:25]
	v_add_f64 v[232:233], v[226:227], v[232:233]
	v_fma_f64 v[224:225], v[200:201], s[0:1], -v[222:223]
	v_fma_f64 v[222:223], v[200:201], s[0:1], v[222:223]
	v_add_f64 v[238:239], v[224:225], v[238:239]
	v_mul_f64 v[224:225], v[244:245], s[24:25]
	v_add_f64 v[242:243], v[222:223], v[242:243]
	v_fma_f64 v[222:223], v[202:203], s[0:1], -v[224:225]
	v_fma_f64 v[226:227], v[202:203], s[0:1], v[224:225]
	v_add_f64 v[252:253], v[222:223], v[208:209]
	v_mul_f64 v[208:209], v[246:247], s[26:27]
	v_add_f64 v[240:241], v[226:227], v[240:241]
	v_fma_f64 v[222:223], v[200:201], s[18:19], -v[208:209]
	v_fma_f64 v[208:209], v[200:201], s[18:19], v[208:209]
	v_add_f64 v[226:227], v[222:223], v[210:211]
	v_mul_f64 v[210:211], v[244:245], s[26:27]
	v_add_f64 v[224:225], v[208:209], v[214:215]
	v_fma_f64 v[222:223], v[202:203], s[18:19], v[210:211]
	v_fma_f64 v[208:209], v[202:203], s[18:19], -v[210:211]
	v_add_f64 v[228:229], v[222:223], v[212:213]
	v_add_f64 v[222:223], v[208:209], v[216:217]
	v_mul_f64 v[208:209], v[246:247], s[28:29]
	v_fma_f64 v[210:211], v[200:201], s[4:5], -v[208:209]
	v_fma_f64 v[208:209], v[200:201], s[4:5], v[208:209]
	v_add_f64 v[218:219], v[210:211], v[218:219]
	v_mul_f64 v[210:211], v[244:245], s[28:29]
	v_add_f64 v[140:141], v[208:209], v[140:141]
	s_waitcnt vmcnt(2)
	v_add_f64 v[244:245], v[4:5], -v[172:173]
	v_fma_f64 v[212:213], v[202:203], s[4:5], v[210:211]
	v_fma_f64 v[208:209], v[202:203], s[4:5], -v[210:211]
	v_add_f64 v[210:211], v[4:5], v[172:173]
	v_add_f64 v[216:217], v[212:213], v[220:221]
	;; [unrolled: 1-line block ×3, first 2 shown]
	s_waitcnt vmcnt(0)
	v_add_f64 v[208:209], v[166:167], v[160:161]
	v_add_f64 v[220:221], v[166:167], -v[160:161]
	v_mul_f64 v[212:213], v[244:245], s[26:27]
	v_mul_f64 v[214:215], v[220:221], s[26:27]
	v_fma_f64 v[246:247], v[208:209], s[18:19], v[212:213]
	v_add_f64 v[246:247], v[246:247], v[144:145]
	v_fma_f64 v[144:145], v[210:211], s[18:19], -v[214:215]
	v_add_f64 v[248:249], v[144:145], v[248:249]
	v_mul_f64 v[144:145], v[244:245], s[30:31]
	buffer_store_dword v246, off, s[40:43], 0 offset:20 ; 4-byte Folded Spill
	buffer_store_dword v247, off, s[40:43], 0 offset:24 ; 4-byte Folded Spill
	buffer_store_dword v248, off, s[40:43], 0 offset:28 ; 4-byte Folded Spill
	buffer_store_dword v249, off, s[40:43], 0 offset:32 ; 4-byte Folded Spill
	v_fma_f64 v[246:247], v[208:209], s[0:1], -v[144:145]
	v_fma_f64 v[144:145], v[208:209], s[0:1], v[144:145]
	v_add_f64 v[146:147], v[246:247], v[250:251]
	v_mul_f64 v[246:247], v[220:221], s[30:31]
	v_fma_f64 v[248:249], v[210:211], s[0:1], v[246:247]
	v_add_f64 v[148:149], v[248:249], v[232:233]
	buffer_store_dword v146, off, s[40:43], 0 offset:36 ; 4-byte Folded Spill
	buffer_store_dword v147, off, s[40:43], 0 offset:40 ; 4-byte Folded Spill
	buffer_store_dword v148, off, s[40:43], 0 offset:44 ; 4-byte Folded Spill
	buffer_store_dword v149, off, s[40:43], 0 offset:48 ; 4-byte Folded Spill
	v_add_f64 v[146:147], v[144:145], v[234:235]
	v_fma_f64 v[144:145], v[210:211], s[0:1], -v[246:247]
	v_add_f64 v[148:149], v[144:145], v[236:237]
	v_mul_f64 v[144:145], v[244:245], s[22:23]
	buffer_store_dword v146, off, s[40:43], 0 offset:52 ; 4-byte Folded Spill
	buffer_store_dword v147, off, s[40:43], 0 offset:56 ; 4-byte Folded Spill
	buffer_store_dword v148, off, s[40:43], 0 offset:60 ; 4-byte Folded Spill
	buffer_store_dword v149, off, s[40:43], 0 offset:64 ; 4-byte Folded Spill
	v_fma_f64 v[232:233], v[208:209], s[16:17], -v[144:145]
	v_fma_f64 v[144:145], v[208:209], s[16:17], v[144:145]
	v_add_f64 v[146:147], v[232:233], v[238:239]
	v_mul_f64 v[232:233], v[220:221], s[22:23]
	v_fma_f64 v[234:235], v[210:211], s[16:17], v[232:233]
	v_add_f64 v[148:149], v[234:235], v[240:241]
	buffer_store_dword v146, off, s[40:43], 0 offset:68 ; 4-byte Folded Spill
	buffer_store_dword v147, off, s[40:43], 0 offset:72 ; 4-byte Folded Spill
	buffer_store_dword v148, off, s[40:43], 0 offset:76 ; 4-byte Folded Spill
	buffer_store_dword v149, off, s[40:43], 0 offset:80 ; 4-byte Folded Spill
	;; [unrolled: 18-line block ×3, first 2 shown]
	v_add_f64 v[146:147], v[144:145], v[224:225]
	v_fma_f64 v[144:145], v[210:211], s[4:5], -v[226:227]
	v_add_f64 v[148:149], v[144:145], v[222:223]
	v_mul_f64 v[144:145], v[244:245], s[20:21]
	buffer_store_dword v146, off, s[40:43], 0 offset:116 ; 4-byte Folded Spill
	buffer_store_dword v147, off, s[40:43], 0 offset:120 ; 4-byte Folded Spill
	;; [unrolled: 1-line block ×4, first 2 shown]
	v_fma_f64 v[222:223], v[208:209], s[6:7], -v[144:145]
	v_fma_f64 v[144:145], v[208:209], s[6:7], v[144:145]
	v_add_f64 v[146:147], v[222:223], v[218:219]
	v_mul_f64 v[218:219], v[220:221], s[20:21]
	v_add_f64 v[144:145], v[144:145], v[140:141]
	v_fma_f64 v[220:221], v[210:211], s[6:7], v[218:219]
	v_fma_f64 v[140:141], v[210:211], s[6:7], -v[218:219]
	v_add_f64 v[148:149], v[220:221], v[216:217]
	buffer_store_dword v146, off, s[40:43], 0 offset:132 ; 4-byte Folded Spill
	buffer_store_dword v147, off, s[40:43], 0 offset:136 ; 4-byte Folded Spill
	;; [unrolled: 1-line block ×4, first 2 shown]
	v_add_f64 v[146:147], v[140:141], v[138:139]
	buffer_store_dword v144, off, s[40:43], 0 offset:148 ; 4-byte Folded Spill
	buffer_store_dword v145, off, s[40:43], 0 offset:152 ; 4-byte Folded Spill
	;; [unrolled: 1-line block ×4, first 2 shown]
	s_waitcnt_vscnt null, 0x0
	s_barrier
	buffer_gl0_inv
	s_clause 0x5
	buffer_load_dword v139, off, s[40:43], 0 offset:1252
	buffer_load_dword v140, off, s[40:43], 0 offset:1268
	;; [unrolled: 1-line block ×6, first 2 shown]
	v_mov_b32_e32 v138, 0x4d
	s_waitcnt vmcnt(5)
	v_mul_u32_u24_sdwa v139, v139, v138 dst_sel:DWORD dst_unused:UNUSED_PAD src0_sel:WORD_0 src1_sel:DWORD
	s_waitcnt vmcnt(4)
	v_add_lshl_u32 v228, v139, v140, 4
	s_waitcnt vmcnt(0)
	ds_write_b128 v228, v[144:147]
	s_clause 0x3
	buffer_load_dword v144, off, s[40:43], 0 offset:1428
	buffer_load_dword v145, off, s[40:43], 0 offset:1432
	;; [unrolled: 1-line block ×4, first 2 shown]
	s_waitcnt vmcnt(0)
	ds_write_b128 v228, v[144:147] offset:112
	ds_write_b128 v228, v[12:15] offset:224
	;; [unrolled: 1-line block ×9, first 2 shown]
	s_clause 0x5
	buffer_load_dword v12, off, s[40:43], 0 offset:1460
	buffer_load_dword v13, off, s[40:43], 0 offset:1464
	;; [unrolled: 1-line block ×6, first 2 shown]
	s_waitcnt vmcnt(2)
	ds_write_b128 v228, v[12:15] offset:1120
	s_waitcnt vmcnt(1)
	v_mul_u32_u24_sdwa v4, v4, v138 dst_sel:DWORD dst_unused:UNUSED_PAD src0_sel:WORD_0 src1_sel:DWORD
	s_waitcnt vmcnt(0)
	v_add_lshl_u32 v229, v4, v5, 4
	ds_write_b128 v229, v[16:19]
	ds_write_b128 v229, v[84:87] offset:112
	ds_write_b128 v229, v[88:91] offset:224
	;; [unrolled: 1-line block ×10, first 2 shown]
	buffer_load_dword v4, off, s[40:43], 0 offset:1332 ; 4-byte Folded Reload
	s_waitcnt vmcnt(0)
	v_mul_u32_u24_sdwa v4, v4, v138 dst_sel:DWORD dst_unused:UNUSED_PAD src0_sel:WORD_0 src1_sel:DWORD
	v_add_lshl_u32 v231, v4, v231, 4
	ds_write_b128 v231, v[120:123]
	ds_write_b128 v231, v[20:23] offset:112
	ds_write_b128 v231, v[24:27] offset:224
	;; [unrolled: 1-line block ×10, first 2 shown]
	s_and_saveexec_b32 s20, vcc_lo
	s_cbranch_execz .LBB0_5
; %bb.4:
	v_add_f64 v[4:5], v[2:3], v[156:157]
	v_add_f64 v[6:7], v[0:1], v[6:7]
	v_mul_f64 v[10:11], v[176:177], s[0:1]
	v_mul_f64 v[8:9], v[178:179], s[0:1]
	;; [unrolled: 1-line block ×6, first 2 shown]
	v_add_f64 v[4:5], v[4:5], v[150:151]
	v_add_f64 v[6:7], v[6:7], v[142:143]
	v_add_f64 v[10:11], v[10:11], -v[180:181]
	v_add_f64 v[8:9], v[182:183], v[8:9]
	v_add_f64 v[14:15], v[14:15], -v[188:189]
	v_add_f64 v[16:17], v[16:17], -v[196:197]
	v_add_f64 v[12:13], v[190:191], v[12:13]
	v_add_f64 v[18:19], v[198:199], v[18:19]
	;; [unrolled: 1-line block ×6, first 2 shown]
	v_mul_f64 v[8:9], v[200:201], s[16:17]
	v_mul_f64 v[10:11], v[202:203], s[16:17]
	v_add_f64 v[4:5], v[4:5], v[158:159]
	v_add_f64 v[6:7], v[6:7], v[152:153]
	v_add_f64 v[0:1], v[14:15], v[0:1]
	v_add_f64 v[2:3], v[12:13], v[2:3]
	v_add_f64 v[8:9], v[8:9], -v[204:205]
	v_mul_f64 v[12:13], v[208:209], s[18:19]
	v_add_f64 v[10:11], v[206:207], v[10:11]
	v_mul_f64 v[14:15], v[210:211], s[18:19]
	v_add_f64 v[4:5], v[4:5], v[174:175]
	v_add_f64 v[6:7], v[6:7], v[166:167]
	;; [unrolled: 1-line block ×4, first 2 shown]
	v_add_f64 v[12:13], v[12:13], -v[212:213]
	v_add_f64 v[14:15], v[214:215], v[14:15]
	v_add_f64 v[4:5], v[4:5], v[172:173]
	;; [unrolled: 1-line block ×15, first 2 shown]
	s_clause 0x1
	buffer_load_dword v8, off, s[40:43], 0 offset:732
	buffer_load_dword v9, off, s[40:43], 0 offset:736
	s_waitcnt vmcnt(1)
	v_mul_u32_u24_sdwa v8, v8, v138 dst_sel:DWORD dst_unused:UNUSED_PAD src0_sel:WORD_0 src1_sel:DWORD
	s_waitcnt vmcnt(0)
	v_add_lshl_u32 v8, v8, v9, 4
	s_clause 0x3
	buffer_load_dword v9, off, s[40:43], 0 offset:36
	buffer_load_dword v10, off, s[40:43], 0 offset:40
	buffer_load_dword v11, off, s[40:43], 0 offset:44
	buffer_load_dword v12, off, s[40:43], 0 offset:48
	s_waitcnt vmcnt(0)
	ds_write_b128 v8, v[9:12] offset:224
	s_clause 0x3
	buffer_load_dword v9, off, s[40:43], 0 offset:68
	buffer_load_dword v10, off, s[40:43], 0 offset:72
	buffer_load_dword v11, off, s[40:43], 0 offset:76
	buffer_load_dword v12, off, s[40:43], 0 offset:80
	s_waitcnt vmcnt(0)
	ds_write_b128 v8, v[9:12] offset:336
	;; [unrolled: 7-line block ×8, first 2 shown]
	ds_write_b128 v8, v[0:3] offset:112
	ds_write_b128 v8, v[4:7]
	s_clause 0x3
	buffer_load_dword v0, off, s[40:43], 0 offset:20
	buffer_load_dword v1, off, s[40:43], 0 offset:24
	;; [unrolled: 1-line block ×4, first 2 shown]
	s_waitcnt vmcnt(0)
	ds_write_b128 v8, v[0:3] offset:1120
.LBB0_5:
	s_or_b32 exec_lo, exec_lo, s20
	buffer_load_dword v215, off, s[40:43], 0 ; 4-byte Folded Reload
	s_waitcnt vmcnt(0) lgkmcnt(0)
	s_barrier
	buffer_gl0_inv
	s_mov_b32 s16, 0x134454ff
	s_mov_b32 s17, 0x3fee6f0e
	;; [unrolled: 1-line block ×14, first 2 shown]
	v_lshlrev_b32_e32 v0, 4, v215
	v_lshlrev_b32_e32 v24, 6, v215
	v_add_co_u32 v135, null, 0x113, v215
	v_add_co_u32 v210, null, 0x14a, v215
	v_add_co_u32 v208, s0, s12, v0
	ds_read_b128 v[26:29], v230
	ds_read_b128 v[126:129], v230 offset:6160
	ds_read_b128 v[130:133], v230 offset:12320
	;; [unrolled: 1-line block ×34, first 2 shown]
	s_clause 0x3
	global_load_dwordx4 v[154:157], v24, s[14:15] offset:1168
	global_load_dwordx4 v[158:161], v24, s[14:15] offset:1152
	;; [unrolled: 1-line block ×4, first 2 shown]
	v_add_co_ci_u32_e64 v209, null, s13, 0, s0
	v_add_co_u32 v202, s0, s14, v24
	v_add_co_ci_u32_e64 v203, null, s15, 0, s0
	s_mov_b32 s13, 0xbfee6f0e
	s_mov_b32 s12, s16
	s_waitcnt vmcnt(0) lgkmcnt(33)
	v_mul_f64 v[24:25], v[128:129], v[146:147]
	v_fma_f64 v[138:139], v[126:127], v[144:145], -v[24:25]
	v_mul_f64 v[24:25], v[126:127], v[146:147]
	buffer_store_dword v144, off, s[40:43], 0 offset:1300 ; 4-byte Folded Spill
	buffer_store_dword v145, off, s[40:43], 0 offset:1304 ; 4-byte Folded Spill
	buffer_store_dword v146, off, s[40:43], 0 offset:1308 ; 4-byte Folded Spill
	buffer_store_dword v147, off, s[40:43], 0 offset:1312 ; 4-byte Folded Spill
	v_fma_f64 v[146:147], v[128:129], v[144:145], v[24:25]
	s_waitcnt lgkmcnt(32)
	v_mul_f64 v[24:25], v[132:133], v[166:167]
	v_fma_f64 v[162:163], v[130:131], v[164:165], -v[24:25]
	v_mul_f64 v[24:25], v[130:131], v[166:167]
	buffer_store_dword v164, off, s[40:43], 0 offset:1284 ; 4-byte Folded Spill
	buffer_store_dword v165, off, s[40:43], 0 offset:1288 ; 4-byte Folded Spill
	buffer_store_dword v166, off, s[40:43], 0 offset:1292 ; 4-byte Folded Spill
	buffer_store_dword v167, off, s[40:43], 0 offset:1296 ; 4-byte Folded Spill
	v_fma_f64 v[148:149], v[132:133], v[164:165], v[24:25]
	s_waitcnt lgkmcnt(31)
	;; [unrolled: 9-line block ×3, first 2 shown]
	v_mul_f64 v[24:25], v[152:153], v[156:157]
	v_fma_f64 v[170:171], v[150:151], v[154:155], -v[24:25]
	v_mul_f64 v[24:25], v[150:151], v[156:157]
	buffer_store_dword v154, off, s[40:43], 0 offset:1252 ; 4-byte Folded Spill
	buffer_store_dword v155, off, s[40:43], 0 offset:1256 ; 4-byte Folded Spill
	;; [unrolled: 1-line block ×4, first 2 shown]
	s_clause 0x1
	buffer_load_dword v126, off, s[40:43], 0 offset:1316
	buffer_load_dword v219, off, s[40:43], 0 offset:1788
	v_fma_f64 v[144:145], v[152:153], v[154:155], v[24:25]
	v_add_co_u32 v24, s0, 0xffffffea, v215
	v_add_co_ci_u32_e64 v25, null, 0, -1, s0
	v_cmp_gt_u16_e64 s0, 22, v215
	s_waitcnt vmcnt(1)
	v_cndmask_b32_e64 v127, v25, v126, s0
	s_waitcnt vmcnt(0)
	v_cndmask_b32_e64 v126, v24, v219, s0
	v_lshlrev_b64 v[24:25], 6, v[126:127]
	v_add_co_u32 v24, s0, s14, v24
	v_add_co_ci_u32_e64 v25, s0, s15, v25, s0
	s_clause 0x3
	global_load_dwordx4 v[127:130], v[24:25], off offset:1168
	global_load_dwordx4 v[131:134], v[24:25], off offset:1152
	;; [unrolled: 1-line block ×4, first 2 shown]
	s_waitcnt vmcnt(0) lgkmcnt(28)
	v_mul_f64 v[24:25], v[124:125], v[156:157]
	v_fma_f64 v[194:195], v[122:123], v[154:155], -v[24:25]
	v_mul_f64 v[24:25], v[122:123], v[156:157]
	buffer_store_dword v154, off, s[40:43], 0 offset:1396 ; 4-byte Folded Spill
	buffer_store_dword v155, off, s[40:43], 0 offset:1400 ; 4-byte Folded Spill
	buffer_store_dword v156, off, s[40:43], 0 offset:1404 ; 4-byte Folded Spill
	buffer_store_dword v157, off, s[40:43], 0 offset:1408 ; 4-byte Folded Spill
	v_fma_f64 v[190:191], v[124:125], v[154:155], v[24:25]
	s_waitcnt lgkmcnt(27)
	v_mul_f64 v[24:25], v[120:121], v[152:153]
	v_fma_f64 v[196:197], v[118:119], v[150:151], -v[24:25]
	v_mul_f64 v[24:25], v[118:119], v[152:153]
	buffer_store_dword v150, off, s[40:43], 0 offset:1364 ; 4-byte Folded Spill
	buffer_store_dword v151, off, s[40:43], 0 offset:1368 ; 4-byte Folded Spill
	buffer_store_dword v152, off, s[40:43], 0 offset:1372 ; 4-byte Folded Spill
	buffer_store_dword v153, off, s[40:43], 0 offset:1376 ; 4-byte Folded Spill
	v_fma_f64 v[192:193], v[120:121], v[150:151], v[24:25]
	s_waitcnt lgkmcnt(26)
	;; [unrolled: 9-line block ×3, first 2 shown]
	v_mul_f64 v[24:25], v[112:113], v[129:130]
	v_fma_f64 v[200:201], v[110:111], v[127:128], -v[24:25]
	v_mul_f64 v[24:25], v[110:111], v[129:130]
	buffer_store_dword v127, off, s[40:43], 0 offset:1316 ; 4-byte Folded Spill
	buffer_store_dword v128, off, s[40:43], 0 offset:1320 ; 4-byte Folded Spill
	;; [unrolled: 1-line block ×4, first 2 shown]
	buffer_load_dword v218, off, s[40:43], 0 offset:1852 ; 4-byte Folded Reload
	v_fma_f64 v[188:189], v[112:113], v[127:128], v[24:25]
	buffer_load_dword v24, off, s[40:43], 0 offset:1348 ; 4-byte Folded Reload
	s_waitcnt vmcnt(0)
	v_mul_lo_u16 v24, 0xd5, v24
	v_lshrrev_b16 v205, 14, v24
	v_mul_lo_u16 v24, 0x4d, v205
	v_sub_nc_u16 v24, v218, v24
	v_and_b32_e32 v204, 0xff, v24
	v_lshlrev_b32_e32 v24, 6, v204
	s_clause 0x3
	global_load_dwordx4 v[110:113], v24, s[14:15] offset:1168
	global_load_dwordx4 v[114:117], v24, s[14:15] offset:1152
	;; [unrolled: 1-line block ×4, first 2 shown]
	s_waitcnt vmcnt(0) lgkmcnt(23)
	v_mul_f64 v[24:25], v[108:109], v[124:125]
	v_fma_f64 v[172:173], v[106:107], v[122:123], -v[24:25]
	v_mul_f64 v[24:25], v[106:107], v[124:125]
	buffer_store_dword v122, off, s[40:43], 0 offset:1428 ; 4-byte Folded Spill
	buffer_store_dword v123, off, s[40:43], 0 offset:1432 ; 4-byte Folded Spill
	buffer_store_dword v124, off, s[40:43], 0 offset:1436 ; 4-byte Folded Spill
	buffer_store_dword v125, off, s[40:43], 0 offset:1440 ; 4-byte Folded Spill
	v_fma_f64 v[150:151], v[108:109], v[122:123], v[24:25]
	s_waitcnt lgkmcnt(22)
	v_mul_f64 v[24:25], v[104:105], v[120:121]
	v_fma_f64 v[176:177], v[102:103], v[118:119], -v[24:25]
	v_mul_f64 v[24:25], v[102:103], v[120:121]
	buffer_store_dword v118, off, s[40:43], 0 offset:1412 ; 4-byte Folded Spill
	buffer_store_dword v119, off, s[40:43], 0 offset:1416 ; 4-byte Folded Spill
	buffer_store_dword v120, off, s[40:43], 0 offset:1420 ; 4-byte Folded Spill
	buffer_store_dword v121, off, s[40:43], 0 offset:1424 ; 4-byte Folded Spill
	v_fma_f64 v[152:153], v[104:105], v[118:119], v[24:25]
	s_waitcnt lgkmcnt(21)
	;; [unrolled: 9-line block ×3, first 2 shown]
	v_mul_f64 v[24:25], v[96:97], v[112:113]
	v_fma_f64 v[184:185], v[94:95], v[110:111], -v[24:25]
	v_mul_f64 v[24:25], v[94:95], v[112:113]
	buffer_store_dword v110, off, s[40:43], 0 offset:1348 ; 4-byte Folded Spill
	buffer_store_dword v111, off, s[40:43], 0 offset:1352 ; 4-byte Folded Spill
	;; [unrolled: 1-line block ×4, first 2 shown]
	buffer_load_dword v217, off, s[40:43], 0 offset:4 ; 4-byte Folded Reload
	v_fma_f64 v[156:157], v[96:97], v[110:111], v[24:25]
	buffer_load_dword v24, off, s[40:43], 0 offset:1444 ; 4-byte Folded Reload
	s_waitcnt vmcnt(0)
	v_mul_lo_u16 v24, 0xd5, v24
	v_lshrrev_b16 v24, 14, v24
	v_mul_lo_u16 v24, 0x4d, v24
	v_sub_nc_u16 v206, v217, v24
	v_mov_b32_e32 v24, 6
	v_lshlrev_b32_sdwa v24, v24, v206 dst_sel:DWORD dst_unused:UNUSED_PAD src0_sel:DWORD src1_sel:BYTE_0
	s_clause 0x3
	global_load_dwordx4 v[94:97], v24, s[14:15] offset:1168
	global_load_dwordx4 v[98:101], v24, s[14:15] offset:1152
	;; [unrolled: 1-line block ×4, first 2 shown]
	s_waitcnt vmcnt(0) lgkmcnt(18)
	v_mul_f64 v[24:25], v[92:93], v[108:109]
	v_fma_f64 v[158:159], v[90:91], v[106:107], -v[24:25]
	v_mul_f64 v[24:25], v[90:91], v[108:109]
	buffer_store_dword v106, off, s[40:43], 0 offset:1492 ; 4-byte Folded Spill
	buffer_store_dword v107, off, s[40:43], 0 offset:1496 ; 4-byte Folded Spill
	buffer_store_dword v108, off, s[40:43], 0 offset:1500 ; 4-byte Folded Spill
	buffer_store_dword v109, off, s[40:43], 0 offset:1504 ; 4-byte Folded Spill
	v_fma_f64 v[120:121], v[92:93], v[106:107], v[24:25]
	s_waitcnt lgkmcnt(17)
	v_mul_f64 v[24:25], v[88:89], v[104:105]
	v_fma_f64 v[174:175], v[86:87], v[102:103], -v[24:25]
	v_mul_f64 v[24:25], v[86:87], v[104:105]
	buffer_store_dword v102, off, s[40:43], 0 offset:1476 ; 4-byte Folded Spill
	buffer_store_dword v103, off, s[40:43], 0 offset:1480 ; 4-byte Folded Spill
	buffer_store_dword v104, off, s[40:43], 0 offset:1484 ; 4-byte Folded Spill
	buffer_store_dword v105, off, s[40:43], 0 offset:1488 ; 4-byte Folded Spill
	v_fma_f64 v[88:89], v[88:89], v[102:103], v[24:25]
	s_waitcnt lgkmcnt(16)
	;; [unrolled: 9-line block ×3, first 2 shown]
	v_mul_f64 v[24:25], v[80:81], v[96:97]
	v_fma_f64 v[182:183], v[78:79], v[94:95], -v[24:25]
	v_mul_f64 v[24:25], v[78:79], v[96:97]
	buffer_store_dword v94, off, s[40:43], 0 offset:1444 ; 4-byte Folded Spill
	buffer_store_dword v95, off, s[40:43], 0 offset:1448 ; 4-byte Folded Spill
	;; [unrolled: 1-line block ×4, first 2 shown]
	buffer_load_dword v216, off, s[40:43], 0 offset:1964 ; 4-byte Folded Reload
	v_fma_f64 v[78:79], v[80:81], v[94:95], v[24:25]
	v_mov_b32_e32 v80, 0x1a99
	s_waitcnt vmcnt(0)
	v_mul_u32_u24_sdwa v24, v216, v80 dst_sel:DWORD dst_unused:UNUSED_PAD src0_sel:WORD_0 src1_sel:DWORD
	v_lshrrev_b32_e32 v207, 19, v24
	v_mul_lo_u16 v24, 0x4d, v207
	v_sub_nc_u16 v211, v216, v24
	v_lshlrev_b16 v24, 6, v211
	v_and_b32_e32 v24, 0xffff, v24
	v_add_co_u32 v24, s0, s14, v24
	v_add_co_ci_u32_e64 v25, null, s15, 0, s0
	s_clause 0x3
	global_load_dwordx4 v[96:99], v[24:25], off offset:1168
	global_load_dwordx4 v[102:105], v[24:25], off offset:1152
	;; [unrolled: 1-line block ×4, first 2 shown]
	s_waitcnt vmcnt(0) lgkmcnt(13)
	v_mul_f64 v[24:25], v[76:77], v[108:109]
	v_fma_f64 v[82:83], v[74:75], v[106:107], -v[24:25]
	v_mul_f64 v[24:25], v[74:75], v[108:109]
	buffer_store_dword v106, off, s[40:43], 0 offset:1556 ; 4-byte Folded Spill
	buffer_store_dword v107, off, s[40:43], 0 offset:1560 ; 4-byte Folded Spill
	buffer_store_dword v108, off, s[40:43], 0 offset:1564 ; 4-byte Folded Spill
	buffer_store_dword v109, off, s[40:43], 0 offset:1568 ; 4-byte Folded Spill
	v_fma_f64 v[90:91], v[76:77], v[106:107], v[24:25]
	s_waitcnt lgkmcnt(12)
	v_mul_f64 v[24:25], v[72:73], v[94:95]
	v_fma_f64 v[86:87], v[70:71], v[92:93], -v[24:25]
	v_mul_f64 v[24:25], v[70:71], v[94:95]
	buffer_store_dword v92, off, s[40:43], 0 offset:1540 ; 4-byte Folded Spill
	buffer_store_dword v93, off, s[40:43], 0 offset:1544 ; 4-byte Folded Spill
	buffer_store_dword v94, off, s[40:43], 0 offset:1548 ; 4-byte Folded Spill
	buffer_store_dword v95, off, s[40:43], 0 offset:1552 ; 4-byte Folded Spill
	v_fma_f64 v[92:93], v[72:73], v[92:93], v[24:25]
	s_waitcnt lgkmcnt(11)
	;; [unrolled: 9-line block ×3, first 2 shown]
	v_mul_f64 v[24:25], v[64:65], v[98:99]
	v_fma_f64 v[104:105], v[62:63], v[96:97], -v[24:25]
	v_mul_f64 v[24:25], v[62:63], v[98:99]
	buffer_store_dword v96, off, s[40:43], 0 offset:1508 ; 4-byte Folded Spill
	buffer_store_dword v97, off, s[40:43], 0 offset:1512 ; 4-byte Folded Spill
	;; [unrolled: 1-line block ×4, first 2 shown]
	v_fma_f64 v[96:97], v[64:65], v[96:97], v[24:25]
	v_mul_u32_u24_sdwa v24, v135, v80 dst_sel:DWORD dst_unused:UNUSED_PAD src0_sel:WORD_0 src1_sel:DWORD
	v_lshrrev_b32_e32 v212, 19, v24
	v_mul_lo_u16 v24, 0x4d, v212
	v_sub_nc_u16 v213, v135, v24
	v_lshlrev_b16 v24, 6, v213
	v_and_b32_e32 v24, 0xffff, v24
	v_add_co_u32 v24, s0, s14, v24
	v_add_co_ci_u32_e64 v25, null, s15, 0, s0
	s_clause 0x3
	global_load_dwordx4 v[62:65], v[24:25], off offset:1168
	global_load_dwordx4 v[66:69], v[24:25], off offset:1152
	;; [unrolled: 1-line block ×4, first 2 shown]
	s_waitcnt vmcnt(0) lgkmcnt(8)
	v_mul_f64 v[24:25], v[60:61], v[76:77]
	v_fma_f64 v[98:99], v[58:59], v[74:75], -v[24:25]
	v_mul_f64 v[24:25], v[58:59], v[76:77]
	buffer_store_dword v74, off, s[40:43], 0 offset:1620 ; 4-byte Folded Spill
	buffer_store_dword v75, off, s[40:43], 0 offset:1624 ; 4-byte Folded Spill
	;; [unrolled: 1-line block ×4, first 2 shown]
	v_add_f64 v[76:77], v[174:175], -v[178:179]
	v_fma_f64 v[106:107], v[60:61], v[74:75], v[24:25]
	s_waitcnt lgkmcnt(7)
	v_mul_f64 v[24:25], v[56:57], v[72:73]
	v_add_f64 v[74:75], v[178:179], -v[182:183]
	v_fma_f64 v[102:103], v[54:55], v[70:71], -v[24:25]
	v_mul_f64 v[24:25], v[54:55], v[72:73]
	buffer_store_dword v70, off, s[40:43], 0 offset:1604 ; 4-byte Folded Spill
	buffer_store_dword v71, off, s[40:43], 0 offset:1608 ; 4-byte Folded Spill
	buffer_store_dword v72, off, s[40:43], 0 offset:1612 ; 4-byte Folded Spill
	buffer_store_dword v73, off, s[40:43], 0 offset:1616 ; 4-byte Folded Spill
	v_add_f64 v[72:73], v[182:183], -v[178:179]
	v_fma_f64 v[108:109], v[56:57], v[70:71], v[24:25]
	s_waitcnt lgkmcnt(6)
	v_mul_f64 v[24:25], v[52:53], v[68:69]
	v_add_f64 v[70:71], v[88:89], -v[84:85]
	v_fma_f64 v[114:115], v[50:51], v[66:67], -v[24:25]
	v_mul_f64 v[24:25], v[50:51], v[68:69]
	buffer_store_dword v66, off, s[40:43], 0 offset:1588 ; 4-byte Folded Spill
	buffer_store_dword v67, off, s[40:43], 0 offset:1592 ; 4-byte Folded Spill
	;; [unrolled: 1-line block ×4, first 2 shown]
	v_add_f64 v[68:69], v[158:159], -v[174:175]
	v_add_f64 v[72:73], v[68:69], v[72:73]
	v_fma_f64 v[110:111], v[52:53], v[66:67], v[24:25]
	s_waitcnt lgkmcnt(5)
	v_mul_f64 v[24:25], v[48:49], v[64:65]
	v_add_f64 v[66:67], v[154:155], -v[156:157]
	v_fma_f64 v[116:117], v[46:47], v[62:63], -v[24:25]
	v_mul_f64 v[24:25], v[46:47], v[64:65]
	buffer_store_dword v62, off, s[40:43], 0 offset:1572 ; 4-byte Folded Spill
	buffer_store_dword v63, off, s[40:43], 0 offset:1576 ; 4-byte Folded Spill
	;; [unrolled: 1-line block ×4, first 2 shown]
	v_add_f64 v[64:65], v[176:177], -v[180:181]
	v_fma_f64 v[112:113], v[48:49], v[62:63], v[24:25]
	v_mul_u32_u24_sdwa v24, v210, v80 dst_sel:DWORD dst_unused:UNUSED_PAD src0_sel:WORD_0 src1_sel:DWORD
	v_add_f64 v[62:63], v[172:173], -v[184:185]
	v_add_f64 v[80:81], v[120:121], -v[88:89]
	v_lshrrev_b32_e32 v24, 19, v24
	v_mul_lo_u16 v24, 0x4d, v24
	v_sub_nc_u16 v214, v210, v24
	v_lshlrev_b16 v24, 6, v214
	v_and_b32_e32 v24, 0xffff, v24
	v_add_co_u32 v24, s0, s14, v24
	v_add_co_ci_u32_e64 v25, null, s15, 0, s0
	s_clause 0x3
	global_load_dwordx4 v[46:49], v[24:25], off offset:1168
	global_load_dwordx4 v[50:53], v[24:25], off offset:1152
	;; [unrolled: 1-line block ×4, first 2 shown]
	v_cmp_lt_u16_e64 s0, 21, v215
	s_waitcnt vmcnt(0) lgkmcnt(3)
	v_mul_f64 v[24:25], v[44:45], v[60:61]
	v_fma_f64 v[118:119], v[42:43], v[58:59], -v[24:25]
	v_mul_f64 v[24:25], v[42:43], v[60:61]
	buffer_store_dword v58, off, s[40:43], 0 offset:1684 ; 4-byte Folded Spill
	buffer_store_dword v59, off, s[40:43], 0 offset:1688 ; 4-byte Folded Spill
	;; [unrolled: 1-line block ×4, first 2 shown]
	v_add_f64 v[42:43], v[198:199], -v[200:201]
	v_fma_f64 v[122:123], v[44:45], v[58:59], v[24:25]
	s_waitcnt lgkmcnt(2)
	v_mul_f64 v[24:25], v[40:41], v[56:57]
	v_add_f64 v[44:45], v[196:197], -v[198:199]
	v_add_f64 v[58:59], v[180:181], -v[184:185]
	v_fma_f64 v[131:132], v[38:39], v[54:55], -v[24:25]
	v_mul_f64 v[24:25], v[38:39], v[56:57]
	buffer_store_dword v54, off, s[40:43], 0 offset:1668 ; 4-byte Folded Spill
	buffer_store_dword v55, off, s[40:43], 0 offset:1672 ; 4-byte Folded Spill
	;; [unrolled: 1-line block ×4, first 2 shown]
	v_add_f64 v[38:39], v[138:139], -v[162:163]
	v_add_f64 v[56:57], v[184:185], -v[180:181]
	v_fma_f64 v[124:125], v[40:41], v[54:55], v[24:25]
	s_waitcnt lgkmcnt(1)
	v_mul_f64 v[24:25], v[36:37], v[52:53]
	v_add_f64 v[40:41], v[170:171], -v[166:167]
	v_add_f64 v[54:55], v[152:153], -v[154:155]
	v_fma_f64 v[133:134], v[34:35], v[50:51], -v[24:25]
	v_mul_f64 v[24:25], v[34:35], v[52:53]
	buffer_store_dword v50, off, s[40:43], 0 offset:1652 ; 4-byte Folded Spill
	buffer_store_dword v51, off, s[40:43], 0 offset:1656 ; 4-byte Folded Spill
	;; [unrolled: 1-line block ×4, first 2 shown]
	v_add_f64 v[38:39], v[38:39], v[40:41]
	v_add_f64 v[40:41], v[144:145], -v[142:143]
	v_add_f64 v[52:53], v[172:173], -v[176:177]
	v_add_f64 v[56:57], v[52:53], v[56:57]
	v_fma_f64 v[127:128], v[36:37], v[50:51], v[24:25]
	s_waitcnt lgkmcnt(0)
	v_mul_f64 v[24:25], v[32:33], v[48:49]
	v_add_f64 v[36:37], v[148:149], -v[142:143]
	v_add_f64 v[50:51], v[186:187], -v[188:189]
	v_fma_f64 v[140:141], v[30:31], v[46:47], -v[24:25]
	v_mul_f64 v[24:25], v[30:31], v[48:49]
	buffer_store_dword v46, off, s[40:43], 0 offset:1636 ; 4-byte Folded Spill
	buffer_store_dword v47, off, s[40:43], 0 offset:1640 ; 4-byte Folded Spill
	;; [unrolled: 1-line block ×4, first 2 shown]
	v_add_f64 v[30:31], v[162:163], v[166:167]
	v_add_f64 v[48:49], v[188:189], -v[186:187]
	s_waitcnt_vscnt null, 0x0
	s_barrier
	buffer_gl0_inv
	v_fma_f64 v[30:31], v[30:31], -0.5, v[26:27]
	v_fma_f64 v[129:130], v[32:33], v[46:47], v[24:25]
	v_add_f64 v[32:33], v[146:147], -v[144:145]
	v_add_f64 v[24:25], v[26:27], v[138:139]
	v_add_f64 v[46:47], v[190:191], -v[192:193]
	v_fma_f64 v[34:35], v[32:33], s[16:17], v[30:31]
	v_fma_f64 v[30:31], v[32:33], s[12:13], v[30:31]
	v_add_f64 v[24:25], v[24:25], v[162:163]
	v_add_f64 v[46:47], v[46:47], v[48:49]
	v_add_f64 v[48:49], v[192:193], -v[190:191]
	v_fma_f64 v[34:35], v[36:37], s[4:5], v[34:35]
	v_fma_f64 v[30:31], v[36:37], s[18:19], v[30:31]
	v_add_f64 v[24:25], v[24:25], v[166:167]
	;; [unrolled: 5-line block ×3, first 2 shown]
	v_add_f64 v[34:35], v[162:163], -v[138:139]
	v_add_f64 v[38:39], v[166:167], -v[170:171]
	v_add_f64 v[24:25], v[24:25], v[170:171]
	v_fma_f64 v[26:27], v[30:31], -0.5, v[26:27]
	v_add_f64 v[34:35], v[34:35], v[38:39]
	v_add_f64 v[38:39], v[146:147], -v[148:149]
	v_fma_f64 v[30:31], v[36:37], s[12:13], v[26:27]
	v_fma_f64 v[26:27], v[36:37], s[16:17], v[26:27]
	v_add_f64 v[36:37], v[162:163], -v[166:167]
	v_add_f64 v[38:39], v[38:39], v[40:41]
	v_add_f64 v[40:41], v[200:201], -v[198:199]
	v_fma_f64 v[30:31], v[32:33], s[4:5], v[30:31]
	v_fma_f64 v[26:27], v[32:33], s[18:19], v[26:27]
	v_add_f64 v[32:33], v[138:139], -v[170:171]
	v_fma_f64 v[168:169], v[34:35], s[6:7], v[30:31]
	v_add_f64 v[30:31], v[148:149], v[142:143]
	v_fma_f64 v[164:165], v[34:35], s[6:7], v[26:27]
	v_add_f64 v[26:27], v[28:29], v[146:147]
	v_fma_f64 v[30:31], v[30:31], -0.5, v[28:29]
	v_add_f64 v[26:27], v[26:27], v[148:149]
	v_fma_f64 v[34:35], v[32:33], s[12:13], v[30:31]
	v_fma_f64 v[30:31], v[32:33], s[16:17], v[30:31]
	v_add_f64 v[26:27], v[26:27], v[142:143]
	v_fma_f64 v[34:35], v[36:37], s[18:19], v[34:35]
	v_fma_f64 v[30:31], v[36:37], s[4:5], v[30:31]
	;; [unrolled: 3-line block ×3, first 2 shown]
	v_add_f64 v[30:31], v[146:147], v[144:145]
	v_add_f64 v[34:35], v[148:149], -v[146:147]
	v_add_f64 v[38:39], v[142:143], -v[144:145]
	v_add_f64 v[142:143], v[78:79], -v[84:85]
	v_add_f64 v[144:145], v[100:101], -v[104:105]
	v_fma_f64 v[28:29], v[30:31], -0.5, v[28:29]
	v_add_f64 v[34:35], v[34:35], v[38:39]
	v_add_f64 v[38:39], v[192:193], -v[186:187]
	v_add_f64 v[80:81], v[80:81], v[142:143]
	v_add_f64 v[142:143], v[104:105], -v[100:101]
	v_fma_f64 v[30:31], v[36:37], s[16:17], v[28:29]
	v_fma_f64 v[28:29], v[36:37], s[12:13], v[28:29]
	v_add_f64 v[36:37], v[194:195], -v[196:197]
	v_fma_f64 v[30:31], v[32:33], s[18:19], v[30:31]
	v_fma_f64 v[28:29], v[32:33], s[4:5], v[28:29]
	v_add_f64 v[40:41], v[36:37], v[40:41]
	v_fma_f64 v[170:171], v[34:35], s[6:7], v[30:31]
	v_add_f64 v[30:31], v[196:197], v[198:199]
	v_fma_f64 v[166:167], v[34:35], s[6:7], v[28:29]
	v_add_f64 v[34:35], v[190:191], -v[188:189]
	v_add_f64 v[28:29], v[20:21], v[194:195]
	ds_write_b128 v230, v[24:27]
	ds_write_b128 v230, v[160:163] offset:1232
	ds_write_b128 v230, v[168:171] offset:2464
	;; [unrolled: 1-line block ×4, first 2 shown]
	v_cndmask_b32_e64 v24, 0, 0x181, s0
	v_fma_f64 v[30:31], v[30:31], -0.5, v[20:21]
	v_add_f64 v[28:29], v[28:29], v[196:197]
	v_add_lshl_u32 v24, v126, v24, 4
	v_fma_f64 v[32:33], v[34:35], s[16:17], v[30:31]
	v_fma_f64 v[30:31], v[34:35], s[12:13], v[30:31]
	v_add_f64 v[28:29], v[28:29], v[198:199]
	v_fma_f64 v[32:33], v[38:39], s[4:5], v[32:33]
	v_fma_f64 v[30:31], v[38:39], s[18:19], v[30:31]
	v_add_f64 v[28:29], v[28:29], v[200:201]
	;; [unrolled: 3-line block ×3, first 2 shown]
	v_add_f64 v[40:41], v[196:197], -v[194:195]
	v_fma_f64 v[30:31], v[30:31], -0.5, v[20:21]
	v_add_f64 v[40:41], v[40:41], v[42:43]
	v_add_f64 v[42:43], v[194:195], -v[200:201]
	v_fma_f64 v[20:21], v[38:39], s[12:13], v[30:31]
	v_fma_f64 v[30:31], v[38:39], s[16:17], v[30:31]
	;; [unrolled: 1-line block ×4, first 2 shown]
	v_add_f64 v[34:35], v[192:193], v[186:187]
	v_fma_f64 v[20:21], v[40:41], s[6:7], v[20:21]
	v_fma_f64 v[40:41], v[40:41], s[6:7], v[30:31]
	v_fma_f64 v[34:35], v[34:35], -0.5, v[22:23]
	v_add_f64 v[30:31], v[22:23], v[190:191]
	v_fma_f64 v[38:39], v[42:43], s[12:13], v[34:35]
	v_fma_f64 v[34:35], v[42:43], s[16:17], v[34:35]
	v_add_f64 v[30:31], v[30:31], v[192:193]
	v_fma_f64 v[38:39], v[44:45], s[18:19], v[38:39]
	v_fma_f64 v[34:35], v[44:45], s[4:5], v[34:35]
	;; [unrolled: 3-line block ×3, first 2 shown]
	v_add_f64 v[46:47], v[190:191], v[188:189]
	v_add_f64 v[30:31], v[30:31], v[188:189]
	v_fma_f64 v[46:47], v[46:47], -0.5, v[22:23]
	v_fma_f64 v[22:23], v[44:45], s[16:17], v[46:47]
	v_fma_f64 v[44:45], v[44:45], s[12:13], v[46:47]
	v_add_f64 v[46:47], v[176:177], v[180:181]
	v_fma_f64 v[22:23], v[42:43], s[18:19], v[22:23]
	v_fma_f64 v[42:43], v[42:43], s[4:5], v[44:45]
	v_fma_f64 v[46:47], v[46:47], -0.5, v[16:17]
	v_add_f64 v[44:45], v[16:17], v[172:173]
	v_fma_f64 v[22:23], v[48:49], s[6:7], v[22:23]
	v_fma_f64 v[42:43], v[48:49], s[6:7], v[42:43]
	;; [unrolled: 1-line block ×4, first 2 shown]
	v_add_f64 v[44:45], v[44:45], v[176:177]
	ds_write_b128 v24, v[28:31]
	ds_write_b128 v24, v[36:39] offset:1232
	ds_write_b128 v24, v[20:23] offset:2464
	;; [unrolled: 1-line block ×3, first 2 shown]
	v_mov_b32_e32 v20, 0x181
	buffer_store_dword v24, off, s[40:43], 0 offset:1720 ; 4-byte Folded Spill
	ds_write_b128 v24, v[32:35] offset:4928
	v_fma_f64 v[48:49], v[54:55], s[4:5], v[48:49]
	v_fma_f64 v[46:47], v[54:55], s[18:19], v[46:47]
	v_add_f64 v[44:45], v[44:45], v[180:181]
	v_mul_u32_u24_sdwa v20, v205, v20 dst_sel:DWORD dst_unused:UNUSED_PAD src0_sel:WORD_0 src1_sel:DWORD
	v_add_lshl_u32 v20, v20, v204, 4
	v_fma_f64 v[52:53], v[56:57], s[6:7], v[48:49]
	v_fma_f64 v[48:49], v[56:57], s[6:7], v[46:47]
	v_add_f64 v[46:47], v[172:173], v[184:185]
	v_add_f64 v[56:57], v[176:177], -v[172:173]
	v_add_f64 v[44:45], v[44:45], v[184:185]
	v_fma_f64 v[16:17], v[46:47], -0.5, v[16:17]
	v_add_f64 v[58:59], v[56:57], v[58:59]
	v_fma_f64 v[46:47], v[54:55], s[12:13], v[16:17]
	v_fma_f64 v[16:17], v[54:55], s[16:17], v[16:17]
	v_add_f64 v[54:55], v[150:151], -v[152:153]
	v_fma_f64 v[46:47], v[50:51], s[4:5], v[46:47]
	v_fma_f64 v[16:17], v[50:51], s[18:19], v[16:17]
	;; [unrolled: 1-line block ×4, first 2 shown]
	v_add_f64 v[16:17], v[18:19], v[150:151]
	v_add_f64 v[58:59], v[156:157], -v[154:155]
	v_add_f64 v[16:17], v[16:17], v[152:153]
	v_add_f64 v[58:59], v[54:55], v[58:59]
	;; [unrolled: 1-line block ×5, first 2 shown]
	v_fma_f64 v[16:17], v[16:17], -0.5, v[18:19]
	v_fma_f64 v[50:51], v[62:63], s[12:13], v[16:17]
	v_fma_f64 v[16:17], v[62:63], s[16:17], v[16:17]
	;; [unrolled: 1-line block ×6, first 2 shown]
	v_add_f64 v[16:17], v[150:151], v[156:157]
	v_add_f64 v[58:59], v[152:153], -v[150:151]
	v_fma_f64 v[16:17], v[16:17], -0.5, v[18:19]
	v_add_f64 v[66:67], v[58:59], v[66:67]
	v_fma_f64 v[18:19], v[64:65], s[16:17], v[16:17]
	v_fma_f64 v[16:17], v[64:65], s[12:13], v[16:17]
	;; [unrolled: 1-line block ×5, first 2 shown]
	v_add_f64 v[18:19], v[174:175], v[178:179]
	v_fma_f64 v[62:63], v[66:67], s[6:7], v[16:17]
	v_add_f64 v[66:67], v[120:121], -v[78:79]
	v_add_f64 v[16:17], v[12:13], v[158:159]
	ds_write_b128 v20, v[44:47]
	ds_write_b128 v20, v[52:55] offset:1232
	ds_write_b128 v20, v[56:59] offset:2464
	;; [unrolled: 1-line block ×3, first 2 shown]
	buffer_store_dword v20, off, s[40:43], 0 offset:1716 ; 4-byte Folded Spill
	v_fma_f64 v[18:19], v[18:19], -0.5, v[12:13]
	ds_write_b128 v20, v[48:51] offset:4928
	v_mov_b32_e32 v20, 4
	v_add_f64 v[16:17], v[16:17], v[174:175]
	v_lshlrev_b32_sdwa v21, v20, v206 dst_sel:DWORD dst_unused:UNUSED_PAD src0_sel:DWORD src1_sel:BYTE_0
	v_fma_f64 v[64:65], v[66:67], s[16:17], v[18:19]
	v_fma_f64 v[18:19], v[66:67], s[12:13], v[18:19]
	v_add_f64 v[16:17], v[16:17], v[178:179]
	v_fma_f64 v[64:65], v[70:71], s[4:5], v[64:65]
	v_fma_f64 v[18:19], v[70:71], s[18:19], v[18:19]
	v_add_f64 v[16:17], v[16:17], v[182:183]
	;; [unrolled: 3-line block ×3, first 2 shown]
	v_add_f64 v[72:73], v[174:175], -v[158:159]
	v_fma_f64 v[18:19], v[18:19], -0.5, v[12:13]
	v_add_f64 v[72:73], v[72:73], v[74:75]
	v_add_f64 v[74:75], v[158:159], -v[182:183]
	v_fma_f64 v[12:13], v[70:71], s[12:13], v[18:19]
	v_fma_f64 v[18:19], v[70:71], s[16:17], v[18:19]
	;; [unrolled: 1-line block ×4, first 2 shown]
	v_add_f64 v[66:67], v[88:89], v[84:85]
	v_fma_f64 v[12:13], v[72:73], s[6:7], v[12:13]
	v_fma_f64 v[72:73], v[72:73], s[6:7], v[18:19]
	v_fma_f64 v[66:67], v[66:67], -0.5, v[14:15]
	v_add_f64 v[18:19], v[14:15], v[120:121]
	v_fma_f64 v[70:71], v[74:75], s[12:13], v[66:67]
	v_fma_f64 v[66:67], v[74:75], s[16:17], v[66:67]
	v_add_f64 v[18:19], v[18:19], v[88:89]
	v_add_f64 v[88:89], v[88:89], -v[120:121]
	v_fma_f64 v[70:71], v[76:77], s[18:19], v[70:71]
	v_fma_f64 v[66:67], v[76:77], s[4:5], v[66:67]
	v_add_f64 v[18:19], v[18:19], v[84:85]
	v_fma_f64 v[70:71], v[80:81], s[6:7], v[70:71]
	v_fma_f64 v[66:67], v[80:81], s[6:7], v[66:67]
	v_add_f64 v[80:81], v[120:121], v[78:79]
	v_add_f64 v[18:19], v[18:19], v[78:79]
	v_add_f64 v[78:79], v[84:85], -v[78:79]
	v_add_f64 v[120:121], v[92:93], -v[94:95]
	;; [unrolled: 1-line block ×3, first 2 shown]
	v_fma_f64 v[80:81], v[80:81], -0.5, v[14:15]
	v_add_f64 v[78:79], v[88:89], v[78:79]
	v_add_f64 v[88:89], v[90:91], -v[96:97]
	v_add_f64 v[142:143], v[84:85], v[142:143]
	v_fma_f64 v[14:15], v[76:77], s[16:17], v[80:81]
	v_fma_f64 v[76:77], v[76:77], s[12:13], v[80:81]
	;; [unrolled: 1-line block ×4, first 2 shown]
	v_add_f64 v[76:77], v[8:9], v[82:83]
	v_fma_f64 v[14:15], v[78:79], s[6:7], v[14:15]
	v_fma_f64 v[74:75], v[78:79], s[6:7], v[74:75]
	v_add_f64 v[78:79], v[86:87], v[100:101]
	v_add_f64 v[76:77], v[76:77], v[86:87]
	ds_write_b128 v21, v[16:19] offset:12320
	ds_write_b128 v21, v[68:71] offset:13552
	;; [unrolled: 1-line block ×4, first 2 shown]
	v_mad_u16 v12, 0x181, v207, v211
	buffer_store_dword v21, off, s[40:43], 0 offset:1712 ; 4-byte Folded Spill
	ds_write_b128 v21, v[64:67] offset:17248
	v_fma_f64 v[78:79], v[78:79], -0.5, v[8:9]
	v_add_f64 v[76:77], v[76:77], v[100:101]
	v_add_f64 v[100:101], v[86:87], -v[100:101]
	v_lshlrev_b32_sdwa v12, v20, v12 dst_sel:DWORD dst_unused:UNUSED_PAD src0_sel:DWORD src1_sel:WORD_0
	v_fma_f64 v[80:81], v[88:89], s[16:17], v[78:79]
	v_fma_f64 v[78:79], v[88:89], s[12:13], v[78:79]
	v_add_f64 v[76:77], v[76:77], v[104:105]
	v_fma_f64 v[80:81], v[120:121], s[4:5], v[80:81]
	v_fma_f64 v[78:79], v[120:121], s[18:19], v[78:79]
	;; [unrolled: 1-line block ×4, first 2 shown]
	v_add_f64 v[78:79], v[82:83], v[104:105]
	v_add_f64 v[142:143], v[86:87], -v[82:83]
	v_add_f64 v[104:105], v[82:83], -v[104:105]
	;; [unrolled: 1-line block ×3, first 2 shown]
	v_fma_f64 v[78:79], v[78:79], -0.5, v[8:9]
	v_add_f64 v[142:143], v[142:143], v[144:145]
	v_add_f64 v[144:145], v[114:115], -v[116:117]
	v_fma_f64 v[8:9], v[120:121], s[12:13], v[78:79]
	v_fma_f64 v[78:79], v[120:121], s[16:17], v[78:79]
	v_add_f64 v[120:121], v[92:93], v[94:95]
	v_fma_f64 v[8:9], v[88:89], s[4:5], v[8:9]
	v_fma_f64 v[78:79], v[88:89], s[18:19], v[78:79]
	v_fma_f64 v[120:121], v[120:121], -0.5, v[10:11]
	v_fma_f64 v[8:9], v[142:143], s[6:7], v[8:9]
	v_fma_f64 v[88:89], v[142:143], s[6:7], v[78:79]
	;; [unrolled: 1-line block ×3, first 2 shown]
	v_add_f64 v[142:143], v[96:97], -v[94:95]
	v_add_f64 v[78:79], v[10:11], v[90:91]
	v_fma_f64 v[82:83], v[100:101], s[18:19], v[82:83]
	v_add_f64 v[142:143], v[86:87], v[142:143]
	v_add_f64 v[78:79], v[78:79], v[92:93]
	v_fma_f64 v[86:87], v[142:143], s[6:7], v[82:83]
	v_fma_f64 v[82:83], v[104:105], s[16:17], v[120:121]
	v_add_f64 v[120:121], v[90:91], v[96:97]
	v_add_f64 v[90:91], v[92:93], -v[90:91]
	v_add_f64 v[92:93], v[94:95], -v[96:97]
	v_add_f64 v[78:79], v[78:79], v[94:95]
	v_add_f64 v[94:95], v[102:103], v[114:115]
	v_fma_f64 v[82:83], v[100:101], s[4:5], v[82:83]
	v_fma_f64 v[120:121], v[120:121], -0.5, v[10:11]
	v_add_f64 v[90:91], v[90:91], v[92:93]
	v_add_f64 v[78:79], v[78:79], v[96:97]
	v_fma_f64 v[94:95], v[94:95], -0.5, v[4:5]
	v_fma_f64 v[82:83], v[142:143], s[6:7], v[82:83]
	v_fma_f64 v[10:11], v[100:101], s[16:17], v[120:121]
	;; [unrolled: 1-line block ×3, first 2 shown]
	v_add_f64 v[120:121], v[108:109], -v[110:111]
	v_add_f64 v[100:101], v[98:99], -v[102:103]
	;; [unrolled: 1-line block ×3, first 2 shown]
	v_fma_f64 v[10:11], v[104:105], s[18:19], v[10:11]
	v_fma_f64 v[92:93], v[104:105], s[4:5], v[92:93]
	v_add_f64 v[104:105], v[106:107], -v[112:113]
	v_add_f64 v[142:143], v[100:101], v[142:143]
	v_fma_f64 v[10:11], v[90:91], s[6:7], v[10:11]
	v_fma_f64 v[90:91], v[90:91], s[6:7], v[92:93]
	;; [unrolled: 1-line block ×4, first 2 shown]
	v_add_f64 v[92:93], v[4:5], v[98:99]
	ds_write_b128 v12, v[76:79]
	ds_write_b128 v12, v[84:87] offset:1232
	ds_write_b128 v12, v[8:11] offset:2464
	;; [unrolled: 1-line block ×3, first 2 shown]
	v_mad_u16 v8, 0x181, v212, v213
	buffer_store_dword v12, off, s[40:43], 0 offset:1708 ; 4-byte Folded Spill
	ds_write_b128 v12, v[80:83] offset:4928
	v_fma_f64 v[96:97], v[120:121], s[4:5], v[96:97]
	v_fma_f64 v[94:95], v[120:121], s[18:19], v[94:95]
	v_add_f64 v[92:93], v[92:93], v[102:103]
	v_lshlrev_b32_sdwa v8, v20, v8 dst_sel:DWORD dst_unused:UNUSED_PAD src0_sel:DWORD src1_sel:WORD_0
	v_fma_f64 v[100:101], v[142:143], s[6:7], v[96:97]
	v_fma_f64 v[96:97], v[142:143], s[6:7], v[94:95]
	v_add_f64 v[94:95], v[98:99], v[116:117]
	v_add_f64 v[92:93], v[92:93], v[114:115]
	v_add_f64 v[142:143], v[102:103], -v[98:99]
	v_add_f64 v[114:115], v[102:103], -v[114:115]
	;; [unrolled: 1-line block ×3, first 2 shown]
	v_fma_f64 v[94:95], v[94:95], -0.5, v[4:5]
	v_add_f64 v[92:93], v[92:93], v[116:117]
	v_add_f64 v[142:143], v[142:143], v[144:145]
	v_add_f64 v[116:117], v[98:99], -v[116:117]
	v_add_f64 v[144:145], v[133:134], -v[140:141]
	v_fma_f64 v[4:5], v[120:121], s[12:13], v[94:95]
	v_fma_f64 v[94:95], v[120:121], s[16:17], v[94:95]
	v_add_f64 v[120:121], v[108:109], v[110:111]
	v_fma_f64 v[4:5], v[104:105], s[4:5], v[4:5]
	v_fma_f64 v[94:95], v[104:105], s[18:19], v[94:95]
	v_fma_f64 v[120:121], v[120:121], -0.5, v[6:7]
	v_fma_f64 v[4:5], v[142:143], s[6:7], v[4:5]
	v_fma_f64 v[104:105], v[142:143], s[6:7], v[94:95]
	;; [unrolled: 1-line block ×3, first 2 shown]
	v_add_f64 v[142:143], v[112:113], -v[110:111]
	v_add_f64 v[94:95], v[6:7], v[106:107]
	v_fma_f64 v[98:99], v[114:115], s[18:19], v[98:99]
	v_add_f64 v[142:143], v[102:103], v[142:143]
	v_add_f64 v[94:95], v[94:95], v[108:109]
	v_fma_f64 v[102:103], v[142:143], s[6:7], v[98:99]
	v_fma_f64 v[98:99], v[116:117], s[16:17], v[120:121]
	v_add_f64 v[120:121], v[106:107], v[112:113]
	v_add_f64 v[94:95], v[94:95], v[110:111]
	v_add_f64 v[106:107], v[108:109], -v[106:107]
	v_add_f64 v[108:109], v[110:111], -v[112:113]
	v_add_f64 v[110:111], v[131:132], v[133:134]
	v_fma_f64 v[98:99], v[114:115], s[4:5], v[98:99]
	v_fma_f64 v[120:121], v[120:121], -0.5, v[6:7]
	v_add_f64 v[94:95], v[94:95], v[112:113]
	v_add_f64 v[106:107], v[106:107], v[108:109]
	v_fma_f64 v[110:111], v[110:111], -0.5, v[0:1]
	v_fma_f64 v[98:99], v[142:143], s[6:7], v[98:99]
	v_fma_f64 v[6:7], v[114:115], s[16:17], v[120:121]
	;; [unrolled: 1-line block ×3, first 2 shown]
	v_add_f64 v[114:115], v[122:123], -v[129:130]
	v_add_f64 v[142:143], v[124:125], -v[127:128]
	;; [unrolled: 1-line block ×3, first 2 shown]
	v_fma_f64 v[6:7], v[116:117], s[18:19], v[6:7]
	v_fma_f64 v[108:109], v[116:117], s[4:5], v[108:109]
	;; [unrolled: 1-line block ×3, first 2 shown]
	v_add_f64 v[116:117], v[118:119], -v[131:132]
	v_fma_f64 v[110:111], v[114:115], s[12:13], v[110:111]
	v_fma_f64 v[6:7], v[106:107], s[6:7], v[6:7]
	;; [unrolled: 1-line block ×4, first 2 shown]
	v_add_f64 v[120:121], v[116:117], v[120:121]
	v_fma_f64 v[110:111], v[142:143], s[18:19], v[110:111]
	v_add_f64 v[108:109], v[0:1], v[118:119]
	ds_write_b128 v8, v[92:95]
	ds_write_b128 v8, v[100:103] offset:1232
	ds_write_b128 v8, v[4:7] offset:2464
	;; [unrolled: 1-line block ×3, first 2 shown]
	v_lshlrev_b32_sdwa v4, v20, v214 dst_sel:DWORD dst_unused:UNUSED_PAD src0_sel:DWORD src1_sel:WORD_0
	buffer_store_dword v8, off, s[40:43], 0 offset:1704 ; 4-byte Folded Spill
	ds_write_b128 v8, v[96:99] offset:4928
	v_fma_f64 v[116:117], v[120:121], s[6:7], v[112:113]
	v_fma_f64 v[112:113], v[120:121], s[6:7], v[110:111]
	v_add_f64 v[110:111], v[118:119], v[140:141]
	v_add_f64 v[108:109], v[108:109], v[131:132]
	v_add_f64 v[120:121], v[131:132], -v[118:119]
	v_add_f64 v[131:132], v[131:132], -v[133:134]
	v_fma_f64 v[0:1], v[110:111], -0.5, v[0:1]
	v_add_f64 v[108:109], v[108:109], v[133:134]
	v_add_f64 v[133:134], v[122:123], -v[124:125]
	v_add_f64 v[144:145], v[120:121], v[144:145]
	v_fma_f64 v[110:111], v[142:143], s[12:13], v[0:1]
	v_fma_f64 v[0:1], v[142:143], s[16:17], v[0:1]
	v_add_f64 v[108:109], v[108:109], v[140:141]
	v_add_f64 v[140:141], v[118:119], -v[140:141]
	v_add_f64 v[142:143], v[129:130], -v[127:128]
	v_fma_f64 v[110:111], v[114:115], s[4:5], v[110:111]
	v_fma_f64 v[0:1], v[114:115], s[18:19], v[0:1]
	v_add_f64 v[114:115], v[124:125], v[127:128]
	v_add_f64 v[133:134], v[133:134], v[142:143]
	v_fma_f64 v[120:121], v[144:145], s[6:7], v[110:111]
	v_add_f64 v[110:111], v[2:3], v[122:123]
	v_fma_f64 v[114:115], v[114:115], -0.5, v[2:3]
	v_fma_f64 v[0:1], v[144:145], s[6:7], v[0:1]
	v_add_f64 v[110:111], v[110:111], v[124:125]
	v_fma_f64 v[118:119], v[140:141], s[12:13], v[114:115]
	v_fma_f64 v[114:115], v[140:141], s[16:17], v[114:115]
	v_add_f64 v[110:111], v[110:111], v[127:128]
	v_fma_f64 v[118:119], v[131:132], s[18:19], v[118:119]
	;; [unrolled: 3-line block ×3, first 2 shown]
	v_fma_f64 v[114:115], v[133:134], s[6:7], v[114:115]
	v_add_f64 v[133:134], v[122:123], v[129:130]
	v_add_f64 v[122:123], v[124:125], -v[122:123]
	v_add_f64 v[124:125], v[127:128], -v[129:130]
	v_fma_f64 v[2:3], v[133:134], -0.5, v[2:3]
	v_add_f64 v[124:125], v[122:123], v[124:125]
	v_fma_f64 v[133:134], v[131:132], s[16:17], v[2:3]
	v_fma_f64 v[2:3], v[131:132], s[12:13], v[2:3]
	v_add_co_u32 v132, s0, 0x17a0, v202
	v_fma_f64 v[133:134], v[140:141], s[18:19], v[133:134]
	v_fma_f64 v[2:3], v[140:141], s[4:5], v[2:3]
	;; [unrolled: 1-line block ×4, first 2 shown]
	v_add_co_ci_u32_e64 v133, s0, 0, v203, s0
	v_add_co_u32 v144, s0, 0x1000, v202
	v_add_co_ci_u32_e64 v145, s0, 0, v203, s0
	ds_write_b128 v4, v[108:111] offset:24640
	ds_write_b128 v4, v[116:119] offset:25872
	;; [unrolled: 1-line block ×4, first 2 shown]
	buffer_store_dword v4, off, s[40:43], 0 offset:1700 ; 4-byte Folded Spill
	ds_write_b128 v4, v[112:115] offset:29568
	s_waitcnt lgkmcnt(0)
	s_waitcnt_vscnt null, 0x0
	s_barrier
	buffer_gl0_inv
	ds_read_b128 v[44:47], v230
	ds_read_b128 v[124:127], v230 offset:6160
	ds_read_b128 v[128:131], v230 offset:12320
	;; [unrolled: 1-line block ×34, first 2 shown]
	s_clause 0x3
	global_load_dwordx4 v[156:159], v[144:145], off offset:1952
	global_load_dwordx4 v[144:147], v[132:133], off offset:48
	global_load_dwordx4 v[148:151], v[132:133], off offset:32
	global_load_dwordx4 v[152:155], v[132:133], off offset:16
	s_waitcnt vmcnt(3) lgkmcnt(33)
	v_mul_f64 v[132:133], v[126:127], v[158:159]
	v_fma_f64 v[196:197], v[124:125], v[156:157], -v[132:133]
	v_mul_f64 v[124:125], v[124:125], v[158:159]
	buffer_store_dword v156, off, s[40:43], 0 offset:1772 ; 4-byte Folded Spill
	buffer_store_dword v157, off, s[40:43], 0 offset:1776 ; 4-byte Folded Spill
	buffer_store_dword v158, off, s[40:43], 0 offset:1780 ; 4-byte Folded Spill
	buffer_store_dword v159, off, s[40:43], 0 offset:1784 ; 4-byte Folded Spill
	v_fma_f64 v[180:181], v[126:127], v[156:157], v[124:125]
	s_waitcnt vmcnt(0) lgkmcnt(32)
	v_mul_f64 v[124:125], v[130:131], v[154:155]
	v_fma_f64 v[198:199], v[128:129], v[152:153], -v[124:125]
	v_mul_f64 v[124:125], v[128:129], v[154:155]
	buffer_store_dword v152, off, s[40:43], 0 offset:1756 ; 4-byte Folded Spill
	buffer_store_dword v153, off, s[40:43], 0 offset:1760 ; 4-byte Folded Spill
	buffer_store_dword v154, off, s[40:43], 0 offset:1764 ; 4-byte Folded Spill
	buffer_store_dword v155, off, s[40:43], 0 offset:1768 ; 4-byte Folded Spill
	v_fma_f64 v[182:183], v[130:131], v[152:153], v[124:125]
	s_waitcnt lgkmcnt(31)
	v_mul_f64 v[124:125], v[138:139], v[150:151]
	v_fma_f64 v[200:201], v[136:137], v[148:149], -v[124:125]
	v_mul_f64 v[124:125], v[136:137], v[150:151]
	buffer_store_dword v148, off, s[40:43], 0 offset:1740 ; 4-byte Folded Spill
	buffer_store_dword v149, off, s[40:43], 0 offset:1744 ; 4-byte Folded Spill
	buffer_store_dword v150, off, s[40:43], 0 offset:1748 ; 4-byte Folded Spill
	buffer_store_dword v151, off, s[40:43], 0 offset:1752 ; 4-byte Folded Spill
	v_fma_f64 v[184:185], v[138:139], v[148:149], v[124:125]
	s_waitcnt lgkmcnt(30)
	v_mul_f64 v[124:125], v[142:143], v[146:147]
	v_fma_f64 v[202:203], v[140:141], v[144:145], -v[124:125]
	v_mul_f64 v[124:125], v[140:141], v[146:147]
	buffer_store_dword v144, off, s[40:43], 0 offset:1724 ; 4-byte Folded Spill
	buffer_store_dword v145, off, s[40:43], 0 offset:1728 ; 4-byte Folded Spill
	buffer_store_dword v146, off, s[40:43], 0 offset:1732 ; 4-byte Folded Spill
	buffer_store_dword v147, off, s[40:43], 0 offset:1736 ; 4-byte Folded Spill
	v_fma_f64 v[186:187], v[142:143], v[144:145], v[124:125]
	v_lshlrev_b32_e32 v124, 6, v219
	v_add_co_u32 v126, s0, s14, v124
	v_add_co_ci_u32_e64 v127, null, s15, 0, s0
	v_add_co_u32 v124, s0, 0x17a0, v126
	v_add_co_ci_u32_e64 v125, s0, 0, v127, s0
	v_add_co_u32 v126, s0, 0x1000, v126
	v_add_co_ci_u32_e64 v127, s0, 0, v127, s0
	s_clause 0x3
	global_load_dwordx4 v[140:143], v[126:127], off offset:1952
	global_load_dwordx4 v[126:129], v[124:125], off offset:48
	global_load_dwordx4 v[130:133], v[124:125], off offset:32
	global_load_dwordx4 v[136:139], v[124:125], off offset:16
	s_waitcnt vmcnt(3) lgkmcnt(28)
	v_mul_f64 v[124:125], v[122:123], v[142:143]
	v_fma_f64 v[188:189], v[120:121], v[140:141], -v[124:125]
	v_mul_f64 v[120:121], v[120:121], v[142:143]
	buffer_store_dword v140, off, s[40:43], 0 offset:1836 ; 4-byte Folded Spill
	buffer_store_dword v141, off, s[40:43], 0 offset:1840 ; 4-byte Folded Spill
	buffer_store_dword v142, off, s[40:43], 0 offset:1844 ; 4-byte Folded Spill
	buffer_store_dword v143, off, s[40:43], 0 offset:1848 ; 4-byte Folded Spill
	v_fma_f64 v[174:175], v[122:123], v[140:141], v[120:121]
	s_waitcnt vmcnt(0) lgkmcnt(27)
	v_mul_f64 v[120:121], v[118:119], v[138:139]
	v_fma_f64 v[190:191], v[116:117], v[136:137], -v[120:121]
	v_mul_f64 v[116:117], v[116:117], v[138:139]
	buffer_store_dword v136, off, s[40:43], 0 offset:1820 ; 4-byte Folded Spill
	buffer_store_dword v137, off, s[40:43], 0 offset:1824 ; 4-byte Folded Spill
	buffer_store_dword v138, off, s[40:43], 0 offset:1828 ; 4-byte Folded Spill
	buffer_store_dword v139, off, s[40:43], 0 offset:1832 ; 4-byte Folded Spill
	v_fma_f64 v[116:117], v[118:119], v[136:137], v[116:117]
	s_waitcnt lgkmcnt(26)
	v_mul_f64 v[118:119], v[114:115], v[132:133]
	v_fma_f64 v[192:193], v[112:113], v[130:131], -v[118:119]
	v_mul_f64 v[112:113], v[112:113], v[132:133]
	buffer_store_dword v130, off, s[40:43], 0 offset:1804 ; 4-byte Folded Spill
	buffer_store_dword v131, off, s[40:43], 0 offset:1808 ; 4-byte Folded Spill
	buffer_store_dword v132, off, s[40:43], 0 offset:1812 ; 4-byte Folded Spill
	buffer_store_dword v133, off, s[40:43], 0 offset:1816 ; 4-byte Folded Spill
	v_fma_f64 v[176:177], v[114:115], v[130:131], v[112:113]
	s_waitcnt lgkmcnt(25)
	v_mul_f64 v[112:113], v[110:111], v[128:129]
	v_fma_f64 v[194:195], v[108:109], v[126:127], -v[112:113]
	v_mul_f64 v[108:109], v[108:109], v[128:129]
	buffer_store_dword v126, off, s[40:43], 0 offset:1788 ; 4-byte Folded Spill
	buffer_store_dword v127, off, s[40:43], 0 offset:1792 ; 4-byte Folded Spill
	buffer_store_dword v128, off, s[40:43], 0 offset:1796 ; 4-byte Folded Spill
	buffer_store_dword v129, off, s[40:43], 0 offset:1800 ; 4-byte Folded Spill
	v_fma_f64 v[178:179], v[110:111], v[126:127], v[108:109]
	v_lshlrev_b32_e32 v108, 6, v218
	v_add_co_u32 v110, s0, s14, v108
	v_add_co_ci_u32_e64 v111, null, s15, 0, s0
	v_add_co_u32 v108, s0, 0x17a0, v110
	v_add_co_ci_u32_e64 v109, s0, 0, v111, s0
	v_add_co_u32 v110, s0, 0x1000, v110
	v_add_co_ci_u32_e64 v111, s0, 0, v111, s0
	;; [unrolled: 48-line block ×3, first 2 shown]
	s_clause 0x3
	global_load_dwordx4 v[106:109], v[102:103], off offset:1952
	global_load_dwordx4 v[110:113], v[94:95], off offset:48
	;; [unrolled: 1-line block ×4, first 2 shown]
	s_waitcnt vmcnt(3) lgkmcnt(18)
	v_mul_f64 v[94:95], v[90:91], v[108:109]
	v_fma_f64 v[94:95], v[88:89], v[106:107], -v[94:95]
	v_mul_f64 v[88:89], v[88:89], v[108:109]
	buffer_store_dword v106, off, s[40:43], 0 offset:4 ; 4-byte Folded Spill
	buffer_store_dword v107, off, s[40:43], 0 offset:8 ; 4-byte Folded Spill
	;; [unrolled: 1-line block ×4, first 2 shown]
	v_fma_f64 v[102:103], v[90:91], v[106:107], v[88:89]
	s_waitcnt vmcnt(0) lgkmcnt(17)
	v_mul_f64 v[88:89], v[86:87], v[124:125]
	v_add_f64 v[90:91], v[138:139], -v[160:161]
	v_fma_f64 v[162:163], v[84:85], v[122:123], -v[88:89]
	v_mul_f64 v[84:85], v[84:85], v[124:125]
	buffer_store_dword v122, off, s[40:43], 0 offset:1948 ; 4-byte Folded Spill
	buffer_store_dword v123, off, s[40:43], 0 offset:1952 ; 4-byte Folded Spill
	buffer_store_dword v124, off, s[40:43], 0 offset:1956 ; 4-byte Folded Spill
	buffer_store_dword v125, off, s[40:43], 0 offset:1960 ; 4-byte Folded Spill
	v_fma_f64 v[106:107], v[86:87], v[122:123], v[84:85]
	s_waitcnt lgkmcnt(16)
	v_mul_f64 v[84:85], v[82:83], v[120:121]
	v_fma_f64 v[164:165], v[80:81], v[118:119], -v[84:85]
	v_mul_f64 v[80:81], v[80:81], v[120:121]
	buffer_store_dword v118, off, s[40:43], 0 offset:1932 ; 4-byte Folded Spill
	buffer_store_dword v119, off, s[40:43], 0 offset:1936 ; 4-byte Folded Spill
	;; [unrolled: 1-line block ×4, first 2 shown]
	v_fma_f64 v[108:109], v[82:83], v[118:119], v[80:81]
	s_waitcnt lgkmcnt(15)
	v_mul_f64 v[80:81], v[78:79], v[112:113]
	v_fma_f64 v[166:167], v[76:77], v[110:111], -v[80:81]
	v_mul_f64 v[76:77], v[76:77], v[112:113]
	buffer_store_dword v110, off, s[40:43], 0 offset:1916 ; 4-byte Folded Spill
	buffer_store_dword v111, off, s[40:43], 0 offset:1920 ; 4-byte Folded Spill
	;; [unrolled: 1-line block ×4, first 2 shown]
	v_fma_f64 v[112:113], v[78:79], v[110:111], v[76:77]
	v_lshlrev_b32_e32 v76, 6, v216
	v_add_co_u32 v78, s0, s14, v76
	v_add_co_ci_u32_e64 v79, null, s15, 0, s0
	v_add_co_u32 v76, s0, 0x17a0, v78
	v_add_co_ci_u32_e64 v77, s0, 0, v79, s0
	v_add_co_u32 v78, s0, 0x1000, v78
	v_add_co_ci_u32_e64 v79, s0, 0, v79, s0
	s_clause 0x3
	global_load_dwordx4 v[118:121], v[78:79], off offset:1952
	global_load_dwordx4 v[78:81], v[76:77], off offset:48
	;; [unrolled: 1-line block ×4, first 2 shown]
	s_waitcnt vmcnt(3) lgkmcnt(13)
	v_mul_f64 v[76:77], v[74:75], v[120:121]
	v_fma_f64 v[110:111], v[72:73], v[118:119], -v[76:77]
	v_mul_f64 v[72:73], v[72:73], v[120:121]
	buffer_store_dword v118, off, s[40:43], 0 offset:2012 ; 4-byte Folded Spill
	buffer_store_dword v119, off, s[40:43], 0 offset:2016 ; 4-byte Folded Spill
	buffer_store_dword v120, off, s[40:43], 0 offset:2020 ; 4-byte Folded Spill
	buffer_store_dword v121, off, s[40:43], 0 offset:2024 ; 4-byte Folded Spill
	v_fma_f64 v[118:119], v[74:75], v[118:119], v[72:73]
	s_waitcnt vmcnt(0) lgkmcnt(12)
	v_mul_f64 v[72:73], v[70:71], v[88:89]
	v_fma_f64 v[114:115], v[68:69], v[86:87], -v[72:73]
	v_mul_f64 v[68:69], v[68:69], v[88:89]
	buffer_store_dword v86, off, s[40:43], 0 offset:1996 ; 4-byte Folded Spill
	buffer_store_dword v87, off, s[40:43], 0 offset:2000 ; 4-byte Folded Spill
	;; [unrolled: 1-line block ×4, first 2 shown]
	v_add_f64 v[88:89], v[136:137], -v[98:99]
	v_fma_f64 v[120:121], v[70:71], v[86:87], v[68:69]
	s_waitcnt lgkmcnt(11)
	v_mul_f64 v[68:69], v[66:67], v[84:85]
	v_add_f64 v[86:87], v[160:161], -v[98:99]
	v_fma_f64 v[128:129], v[64:65], v[82:83], -v[68:69]
	v_mul_f64 v[64:65], v[64:65], v[84:85]
	buffer_store_dword v82, off, s[40:43], 0 offset:1980 ; 4-byte Folded Spill
	buffer_store_dword v83, off, s[40:43], 0 offset:1984 ; 4-byte Folded Spill
	;; [unrolled: 1-line block ×4, first 2 shown]
	v_add_f64 v[84:85], v[98:99], -v[160:161]
	v_fma_f64 v[122:123], v[66:67], v[82:83], v[64:65]
	s_waitcnt lgkmcnt(10)
	v_mul_f64 v[64:65], v[62:63], v[80:81]
	v_add_f64 v[82:83], v[100:101], -v[96:97]
	v_fma_f64 v[132:133], v[60:61], v[78:79], -v[64:65]
	v_mul_f64 v[60:61], v[60:61], v[80:81]
	buffer_store_dword v78, off, s[40:43], 0 offset:1964 ; 4-byte Folded Spill
	buffer_store_dword v79, off, s[40:43], 0 offset:1968 ; 4-byte Folded Spill
	;; [unrolled: 1-line block ×4, first 2 shown]
	v_add_f64 v[80:81], v[136:137], -v[138:139]
	v_add_f64 v[84:85], v[80:81], v[84:85]
	v_fma_f64 v[124:125], v[62:63], v[78:79], v[60:61]
	v_lshlrev_b32_e32 v60, 6, v135
	v_add_f64 v[78:79], v[176:177], -v[178:179]
	v_add_co_u32 v62, s0, s14, v60
	v_add_co_ci_u32_e64 v63, null, s15, 0, s0
	v_add_co_u32 v60, s0, 0x17a0, v62
	v_add_co_ci_u32_e64 v61, s0, 0, v63, s0
	v_add_co_u32 v62, s0, 0x1000, v62
	v_add_co_ci_u32_e64 v63, s0, 0, v63, s0
	s_clause 0x3
	global_load_dwordx4 v[70:73], v[62:63], off offset:1952
	global_load_dwordx4 v[62:65], v[60:61], off offset:48
	global_load_dwordx4 v[66:69], v[60:61], off offset:32
	global_load_dwordx4 v[74:77], v[60:61], off offset:16
	s_waitcnt vmcnt(3) lgkmcnt(8)
	v_mul_f64 v[60:61], v[58:59], v[72:73]
	v_fma_f64 v[126:127], v[56:57], v[70:71], -v[60:61]
	v_mul_f64 v[56:57], v[56:57], v[72:73]
	buffer_store_dword v70, off, s[40:43], 0 offset:2060 ; 4-byte Folded Spill
	buffer_store_dword v71, off, s[40:43], 0 offset:2064 ; 4-byte Folded Spill
	;; [unrolled: 1-line block ×4, first 2 shown]
	v_add_f64 v[72:73], v[188:189], -v[194:195]
	v_fma_f64 v[134:135], v[58:59], v[70:71], v[56:57]
	s_waitcnt vmcnt(0) lgkmcnt(7)
	v_mul_f64 v[56:57], v[10:11], v[76:77]
	v_add_f64 v[70:71], v[192:193], -v[194:195]
	v_fma_f64 v[130:131], v[8:9], v[74:75], -v[56:57]
	v_mul_f64 v[8:9], v[8:9], v[76:77]
	buffer_store_dword v74, off, s[40:43], 0 offset:2076 ; 4-byte Folded Spill
	buffer_store_dword v75, off, s[40:43], 0 offset:2080 ; 4-byte Folded Spill
	;; [unrolled: 1-line block ×4, first 2 shown]
	v_add_f64 v[76:77], v[178:179], -v[176:177]
	v_fma_f64 v[154:155], v[10:11], v[74:75], v[8:9]
	s_waitcnt lgkmcnt(6)
	v_mul_f64 v[8:9], v[6:7], v[68:69]
	v_add_f64 v[74:75], v[190:191], -v[192:193]
	v_fma_f64 v[170:171], v[4:5], v[66:67], -v[8:9]
	v_mul_f64 v[4:5], v[4:5], v[68:69]
	buffer_store_dword v66, off, s[40:43], 0 offset:2044 ; 4-byte Folded Spill
	buffer_store_dword v67, off, s[40:43], 0 offset:2048 ; 4-byte Folded Spill
	;; [unrolled: 1-line block ×4, first 2 shown]
	v_add_f64 v[68:69], v[194:195], -v[192:193]
	v_fma_f64 v[158:159], v[6:7], v[66:67], v[4:5]
	s_waitcnt lgkmcnt(5)
	v_mul_f64 v[4:5], v[2:3], v[64:65]
	v_add_f64 v[66:67], v[116:117], -v[176:177]
	v_fma_f64 v[172:173], v[0:1], v[62:63], -v[4:5]
	v_mul_f64 v[0:1], v[0:1], v[64:65]
	buffer_store_dword v62, off, s[40:43], 0 offset:2028 ; 4-byte Folded Spill
	buffer_store_dword v63, off, s[40:43], 0 offset:2032 ; 4-byte Folded Spill
	;; [unrolled: 1-line block ×4, first 2 shown]
	v_fma_f64 v[168:169], v[2:3], v[62:63], v[0:1]
	v_lshlrev_b32_e32 v0, 6, v210
	v_add_co_u32 v0, s0, s14, v0
	v_add_co_ci_u32_e64 v1, null, s15, 0, s0
	s_mov_b32 s14, 0xaaaaaaaa
	v_add_co_u32 v4, s0, 0x17a0, v0
	v_add_co_ci_u32_e64 v5, s0, 0, v1, s0
	v_add_co_u32 v0, s0, 0x1000, v0
	v_add_co_ci_u32_e64 v1, s0, 0, v1, s0
	s_clause 0x3
	global_load_dwordx4 v[62:65], v[0:1], off offset:1952
	global_load_dwordx4 v[0:3], v[4:5], off offset:48
	;; [unrolled: 1-line block ×4, first 2 shown]
	s_mov_b32 s15, 0xbff2aaaa
	s_waitcnt vmcnt(3) lgkmcnt(3)
	v_mul_f64 v[56:57], v[50:51], v[64:65]
	v_fma_f64 v[148:149], v[48:49], v[62:63], -v[56:57]
	v_mul_f64 v[48:49], v[48:49], v[64:65]
	buffer_store_dword v62, off, s[40:43], 0 offset:2140 ; 4-byte Folded Spill
	buffer_store_dword v63, off, s[40:43], 0 offset:2144 ; 4-byte Folded Spill
	;; [unrolled: 1-line block ×4, first 2 shown]
	v_add_f64 v[56:57], v[196:197], -v[202:203]
	v_add_f64 v[64:65], v[188:189], -v[190:191]
	v_add_f64 v[68:69], v[64:65], v[68:69]
	v_fma_f64 v[140:141], v[50:51], v[62:63], v[48:49]
	s_waitcnt vmcnt(0) lgkmcnt(2)
	v_mul_f64 v[48:49], v[42:43], v[60:61]
	v_add_f64 v[50:51], v[200:201], -v[202:203]
	v_add_f64 v[62:63], v[184:185], -v[186:187]
	v_fma_f64 v[150:151], v[40:41], v[58:59], -v[48:49]
	v_mul_f64 v[40:41], v[40:41], v[60:61]
	buffer_store_dword v58, off, s[40:43], 0 offset:2124 ; 4-byte Folded Spill
	buffer_store_dword v59, off, s[40:43], 0 offset:2128 ; 4-byte Folded Spill
	;; [unrolled: 1-line block ×4, first 2 shown]
	v_add_f64 v[48:49], v[202:203], -v[200:201]
	v_add_f64 v[60:61], v[186:187], -v[184:185]
	v_fma_f64 v[142:143], v[42:43], v[58:59], v[40:41]
	s_waitcnt lgkmcnt(1)
	v_mul_f64 v[40:41], v[38:39], v[8:9]
	v_add_f64 v[42:43], v[182:183], -v[184:185]
	v_add_f64 v[58:59], v[198:199], -v[200:201]
	v_fma_f64 v[152:153], v[36:37], v[6:7], -v[40:41]
	v_mul_f64 v[36:37], v[36:37], v[8:9]
	buffer_store_dword v6, off, s[40:43], 0 offset:2108 ; 4-byte Folded Spill
	buffer_store_dword v7, off, s[40:43], 0 offset:2112 ; 4-byte Folded Spill
	;; [unrolled: 1-line block ×4, first 2 shown]
	v_add_f64 v[40:41], v[196:197], -v[198:199]
	v_add_f64 v[48:49], v[40:41], v[48:49]
	v_fma_f64 v[144:145], v[38:39], v[6:7], v[36:37]
	s_waitcnt lgkmcnt(0)
	v_mul_f64 v[36:37], v[34:35], v[2:3]
	v_add_f64 v[38:39], v[180:181], -v[186:187]
	v_fma_f64 v[156:157], v[32:33], v[0:1], -v[36:37]
	v_mul_f64 v[32:33], v[32:33], v[2:3]
	buffer_store_dword v0, off, s[40:43], 0 offset:2092 ; 4-byte Folded Spill
	buffer_store_dword v1, off, s[40:43], 0 offset:2096 ; 4-byte Folded Spill
	;; [unrolled: 1-line block ×4, first 2 shown]
	v_fma_f64 v[146:147], v[34:35], v[0:1], v[32:33]
	v_add_f64 v[34:35], v[198:199], v[200:201]
	v_add_f64 v[32:33], v[44:45], v[196:197]
	v_fma_f64 v[34:35], v[34:35], -0.5, v[44:45]
	v_add_f64 v[32:33], v[32:33], v[198:199]
	v_fma_f64 v[36:37], v[38:39], s[16:17], v[34:35]
	v_fma_f64 v[34:35], v[38:39], s[12:13], v[34:35]
	v_add_f64 v[32:33], v[32:33], v[200:201]
	v_fma_f64 v[36:37], v[42:43], s[4:5], v[36:37]
	v_fma_f64 v[34:35], v[42:43], s[18:19], v[34:35]
	;; [unrolled: 3-line block ×3, first 2 shown]
	v_add_f64 v[34:35], v[196:197], v[202:203]
	v_add_f64 v[48:49], v[198:199], -v[196:197]
	v_fma_f64 v[34:35], v[34:35], -0.5, v[44:45]
	v_add_f64 v[50:51], v[48:49], v[50:51]
	v_fma_f64 v[44:45], v[42:43], s[12:13], v[34:35]
	v_fma_f64 v[34:35], v[42:43], s[16:17], v[34:35]
	;; [unrolled: 1-line block ×4, first 2 shown]
	v_add_f64 v[38:39], v[182:183], v[184:185]
	v_fma_f64 v[48:49], v[50:51], s[6:7], v[44:45]
	v_fma_f64 v[44:45], v[50:51], s[6:7], v[34:35]
	v_fma_f64 v[38:39], v[38:39], -0.5, v[46:47]
	v_add_f64 v[50:51], v[180:181], -v[182:183]
	v_add_f64 v[34:35], v[46:47], v[180:181]
	v_fma_f64 v[42:43], v[56:57], s[12:13], v[38:39]
	v_fma_f64 v[38:39], v[56:57], s[16:17], v[38:39]
	v_add_f64 v[50:51], v[50:51], v[60:61]
	v_add_f64 v[60:61], v[182:183], -v[180:181]
	v_add_f64 v[34:35], v[34:35], v[182:183]
	v_fma_f64 v[42:43], v[58:59], s[18:19], v[42:43]
	v_fma_f64 v[38:39], v[58:59], s[4:5], v[38:39]
	v_add_f64 v[60:61], v[60:61], v[62:63]
	;; [unrolled: 5-line block ×3, first 2 shown]
	v_add_f64 v[34:35], v[34:35], v[186:187]
	v_fma_f64 v[46:47], v[50:51], -0.5, v[46:47]
	v_fma_f64 v[50:51], v[58:59], s[16:17], v[46:47]
	v_fma_f64 v[46:47], v[58:59], s[12:13], v[46:47]
	v_add_f64 v[58:59], v[190:191], v[192:193]
	v_fma_f64 v[50:51], v[56:57], s[18:19], v[50:51]
	v_fma_f64 v[46:47], v[56:57], s[4:5], v[46:47]
	v_fma_f64 v[58:59], v[58:59], -0.5, v[52:53]
	v_add_f64 v[56:57], v[52:53], v[188:189]
	v_fma_f64 v[50:51], v[60:61], s[6:7], v[50:51]
	v_fma_f64 v[46:47], v[60:61], s[6:7], v[46:47]
	;; [unrolled: 1-line block ×4, first 2 shown]
	v_add_f64 v[56:57], v[56:57], v[190:191]
	v_fma_f64 v[60:61], v[66:67], s[4:5], v[60:61]
	v_fma_f64 v[58:59], v[66:67], s[18:19], v[58:59]
	v_add_f64 v[56:57], v[56:57], v[192:193]
	v_fma_f64 v[64:65], v[68:69], s[6:7], v[60:61]
	v_fma_f64 v[60:61], v[68:69], s[6:7], v[58:59]
	v_add_f64 v[58:59], v[188:189], v[194:195]
	v_add_f64 v[68:69], v[190:191], -v[188:189]
	v_add_f64 v[56:57], v[56:57], v[194:195]
	v_fma_f64 v[52:53], v[58:59], -0.5, v[52:53]
	v_add_f64 v[70:71], v[68:69], v[70:71]
	v_fma_f64 v[58:59], v[66:67], s[12:13], v[52:53]
	v_fma_f64 v[52:53], v[66:67], s[16:17], v[52:53]
	;; [unrolled: 1-line block ×4, first 2 shown]
	v_add_f64 v[62:63], v[116:117], v[176:177]
	v_fma_f64 v[68:69], v[70:71], s[6:7], v[58:59]
	v_fma_f64 v[52:53], v[70:71], s[6:7], v[52:53]
	v_fma_f64 v[62:63], v[62:63], -0.5, v[54:55]
	v_add_f64 v[70:71], v[174:175], -v[116:117]
	v_add_f64 v[58:59], v[54:55], v[174:175]
	v_fma_f64 v[66:67], v[72:73], s[12:13], v[62:63]
	v_fma_f64 v[62:63], v[72:73], s[16:17], v[62:63]
	v_add_f64 v[70:71], v[70:71], v[76:77]
	v_add_f64 v[76:77], v[116:117], -v[174:175]
	v_add_f64 v[58:59], v[58:59], v[116:117]
	v_add_f64 v[116:117], v[164:165], -v[166:167]
	v_fma_f64 v[66:67], v[74:75], s[18:19], v[66:67]
	v_fma_f64 v[62:63], v[74:75], s[4:5], v[62:63]
	v_add_f64 v[76:77], v[76:77], v[78:79]
	v_add_f64 v[78:79], v[104:105], -v[92:93]
	v_add_f64 v[58:59], v[58:59], v[176:177]
	v_fma_f64 v[66:67], v[70:71], s[6:7], v[66:67]
	v_fma_f64 v[62:63], v[70:71], s[6:7], v[62:63]
	v_add_f64 v[70:71], v[174:175], v[178:179]
	v_add_f64 v[58:59], v[58:59], v[178:179]
	v_fma_f64 v[54:55], v[70:71], -0.5, v[54:55]
	v_fma_f64 v[70:71], v[74:75], s[16:17], v[54:55]
	v_fma_f64 v[54:55], v[74:75], s[12:13], v[54:55]
	v_add_f64 v[74:75], v[138:139], v[160:161]
	v_fma_f64 v[70:71], v[72:73], s[18:19], v[70:71]
	v_fma_f64 v[54:55], v[72:73], s[4:5], v[54:55]
	v_fma_f64 v[74:75], v[74:75], -0.5, v[28:29]
	v_add_f64 v[72:73], v[28:29], v[136:137]
	v_fma_f64 v[70:71], v[76:77], s[6:7], v[70:71]
	v_fma_f64 v[54:55], v[76:77], s[6:7], v[54:55]
	v_fma_f64 v[76:77], v[78:79], s[16:17], v[74:75]
	v_fma_f64 v[74:75], v[78:79], s[12:13], v[74:75]
	v_add_f64 v[72:73], v[72:73], v[138:139]
	v_fma_f64 v[76:77], v[82:83], s[4:5], v[76:77]
	v_fma_f64 v[74:75], v[82:83], s[18:19], v[74:75]
	v_add_f64 v[72:73], v[72:73], v[160:161]
	v_add_f64 v[160:161], v[128:129], -v[132:133]
	v_fma_f64 v[80:81], v[84:85], s[6:7], v[76:77]
	v_fma_f64 v[76:77], v[84:85], s[6:7], v[74:75]
	v_add_f64 v[74:75], v[136:137], v[98:99]
	v_add_f64 v[84:85], v[138:139], -v[136:137]
	v_add_f64 v[72:73], v[72:73], v[98:99]
	v_add_f64 v[98:99], v[92:93], -v[96:97]
	v_add_f64 v[136:137], v[162:163], -v[164:165]
	;; [unrolled: 1-line block ×3, first 2 shown]
	v_fma_f64 v[28:29], v[74:75], -0.5, v[28:29]
	v_add_f64 v[86:87], v[84:85], v[86:87]
	v_fma_f64 v[74:75], v[82:83], s[12:13], v[28:29]
	v_fma_f64 v[28:29], v[82:83], s[16:17], v[28:29]
	;; [unrolled: 1-line block ×4, first 2 shown]
	v_add_f64 v[78:79], v[100:101], v[96:97]
	v_fma_f64 v[84:85], v[86:87], s[6:7], v[74:75]
	v_fma_f64 v[28:29], v[86:87], s[6:7], v[28:29]
	v_fma_f64 v[78:79], v[78:79], -0.5, v[30:31]
	v_add_f64 v[86:87], v[104:105], -v[100:101]
	v_add_f64 v[74:75], v[30:31], v[104:105]
	v_fma_f64 v[82:83], v[88:89], s[12:13], v[78:79]
	v_fma_f64 v[78:79], v[88:89], s[16:17], v[78:79]
	v_add_f64 v[86:87], v[86:87], v[98:99]
	v_add_f64 v[74:75], v[74:75], v[100:101]
	v_add_f64 v[98:99], v[100:101], -v[104:105]
	v_add_f64 v[100:101], v[166:167], -v[164:165]
	v_fma_f64 v[82:83], v[90:91], s[18:19], v[82:83]
	v_fma_f64 v[78:79], v[90:91], s[4:5], v[78:79]
	v_add_f64 v[74:75], v[74:75], v[96:97]
	v_fma_f64 v[82:83], v[86:87], s[6:7], v[82:83]
	v_fma_f64 v[78:79], v[86:87], s[6:7], v[78:79]
	v_add_f64 v[86:87], v[104:105], v[92:93]
	v_add_f64 v[74:75], v[74:75], v[92:93]
	v_add_f64 v[92:93], v[96:97], -v[92:93]
	v_add_f64 v[104:105], v[106:107], -v[108:109]
	;; [unrolled: 1-line block ×3, first 2 shown]
	v_fma_f64 v[30:31], v[86:87], -0.5, v[30:31]
	v_add_f64 v[92:93], v[98:99], v[92:93]
	v_add_f64 v[98:99], v[102:103], -v[112:113]
	v_add_f64 v[100:101], v[96:97], v[100:101]
	v_fma_f64 v[86:87], v[90:91], s[16:17], v[30:31]
	v_fma_f64 v[30:31], v[90:91], s[12:13], v[30:31]
	v_add_f64 v[90:91], v[162:163], v[164:165]
	v_fma_f64 v[86:87], v[88:89], s[18:19], v[86:87]
	v_fma_f64 v[30:31], v[88:89], s[4:5], v[30:31]
	v_fma_f64 v[90:91], v[90:91], -0.5, v[24:25]
	v_add_f64 v[88:89], v[24:25], v[94:95]
	v_fma_f64 v[86:87], v[92:93], s[6:7], v[86:87]
	v_fma_f64 v[30:31], v[92:93], s[6:7], v[30:31]
	;; [unrolled: 1-line block ×4, first 2 shown]
	v_add_f64 v[88:89], v[88:89], v[162:163]
	v_fma_f64 v[92:93], v[104:105], s[4:5], v[92:93]
	v_fma_f64 v[90:91], v[104:105], s[18:19], v[90:91]
	v_add_f64 v[88:89], v[88:89], v[164:165]
	v_add_f64 v[164:165], v[156:157], -v[152:153]
	v_fma_f64 v[96:97], v[100:101], s[6:7], v[92:93]
	v_fma_f64 v[92:93], v[100:101], s[6:7], v[90:91]
	v_add_f64 v[90:91], v[94:95], v[166:167]
	v_add_f64 v[100:101], v[162:163], -v[94:95]
	v_add_f64 v[162:163], v[168:169], -v[158:159]
	v_add_f64 v[88:89], v[88:89], v[166:167]
	v_fma_f64 v[24:25], v[90:91], -0.5, v[24:25]
	v_add_f64 v[116:117], v[100:101], v[116:117]
	v_fma_f64 v[90:91], v[104:105], s[12:13], v[24:25]
	v_fma_f64 v[24:25], v[104:105], s[16:17], v[24:25]
	v_fma_f64 v[90:91], v[98:99], s[4:5], v[90:91]
	v_fma_f64 v[24:25], v[98:99], s[18:19], v[24:25]
	v_add_f64 v[98:99], v[106:107], v[108:109]
	v_fma_f64 v[100:101], v[116:117], s[6:7], v[90:91]
	v_fma_f64 v[24:25], v[116:117], s[6:7], v[24:25]
	v_fma_f64 v[104:105], v[98:99], -0.5, v[26:27]
	v_add_f64 v[116:117], v[94:95], -v[166:167]
	v_add_f64 v[98:99], v[102:103], -v[106:107]
	v_add_f64 v[90:91], v[26:27], v[102:103]
	v_add_f64 v[166:167], v[152:153], -v[156:157]
	v_fma_f64 v[94:95], v[116:117], s[12:13], v[104:105]
	v_add_f64 v[138:139], v[98:99], v[138:139]
	v_add_f64 v[90:91], v[90:91], v[106:107]
	v_fma_f64 v[94:95], v[136:137], s[18:19], v[94:95]
	v_add_f64 v[90:91], v[90:91], v[108:109]
	v_fma_f64 v[98:99], v[138:139], s[6:7], v[94:95]
	v_fma_f64 v[94:95], v[116:117], s[16:17], v[104:105]
	v_add_f64 v[104:105], v[102:103], v[112:113]
	v_add_f64 v[102:103], v[106:107], -v[102:103]
	v_add_f64 v[106:107], v[108:109], -v[112:113]
	v_add_f64 v[90:91], v[90:91], v[112:113]
	v_add_f64 v[112:113], v[110:111], -v[114:115]
	v_fma_f64 v[94:95], v[136:137], s[4:5], v[94:95]
	v_fma_f64 v[26:27], v[104:105], -0.5, v[26:27]
	v_add_f64 v[106:107], v[102:103], v[106:107]
	v_fma_f64 v[94:95], v[138:139], s[6:7], v[94:95]
	v_fma_f64 v[104:105], v[136:137], s[16:17], v[26:27]
	v_fma_f64 v[26:27], v[136:137], s[12:13], v[26:27]
	v_add_f64 v[136:137], v[118:119], -v[124:125]
	v_add_f64 v[138:139], v[120:121], -v[122:123]
	v_fma_f64 v[104:105], v[116:117], s[18:19], v[104:105]
	v_fma_f64 v[26:27], v[116:117], s[4:5], v[26:27]
	v_add_f64 v[116:117], v[132:133], -v[128:129]
	v_fma_f64 v[102:103], v[106:107], s[6:7], v[104:105]
	v_fma_f64 v[26:27], v[106:107], s[6:7], v[26:27]
	v_add_f64 v[106:107], v[114:115], v[128:129]
	v_add_f64 v[116:117], v[112:113], v[116:117]
	v_add_f64 v[104:105], v[20:21], v[110:111]
	v_fma_f64 v[106:107], v[106:107], -0.5, v[20:21]
	v_add_f64 v[104:105], v[104:105], v[114:115]
	v_fma_f64 v[108:109], v[136:137], s[16:17], v[106:107]
	v_fma_f64 v[106:107], v[136:137], s[12:13], v[106:107]
	v_add_f64 v[104:105], v[104:105], v[128:129]
	v_add_f64 v[128:129], v[114:115], -v[128:129]
	v_fma_f64 v[108:109], v[138:139], s[4:5], v[108:109]
	v_fma_f64 v[106:107], v[138:139], s[18:19], v[106:107]
	v_add_f64 v[104:105], v[104:105], v[132:133]
	v_fma_f64 v[112:113], v[116:117], s[6:7], v[108:109]
	v_fma_f64 v[108:109], v[116:117], s[6:7], v[106:107]
	v_add_f64 v[106:107], v[110:111], v[132:133]
	v_add_f64 v[132:133], v[110:111], -v[132:133]
	v_add_f64 v[116:117], v[114:115], -v[110:111]
	;; [unrolled: 1-line block ×3, first 2 shown]
	v_fma_f64 v[20:21], v[106:107], -0.5, v[20:21]
	v_add_f64 v[160:161], v[116:117], v[160:161]
	v_fma_f64 v[106:107], v[138:139], s[12:13], v[20:21]
	v_fma_f64 v[20:21], v[138:139], s[16:17], v[20:21]
	v_add_f64 v[138:139], v[124:125], -v[122:123]
	v_fma_f64 v[106:107], v[136:137], s[4:5], v[106:107]
	v_fma_f64 v[20:21], v[136:137], s[18:19], v[20:21]
	v_add_f64 v[136:137], v[120:121], v[122:123]
	v_add_f64 v[138:139], v[114:115], v[138:139]
	v_fma_f64 v[116:117], v[160:161], s[6:7], v[106:107]
	v_add_f64 v[106:107], v[22:23], v[118:119]
	v_fma_f64 v[136:137], v[136:137], -0.5, v[22:23]
	v_fma_f64 v[20:21], v[160:161], s[6:7], v[20:21]
	v_add_f64 v[160:161], v[170:171], -v[172:173]
	v_add_f64 v[106:107], v[106:107], v[120:121]
	v_fma_f64 v[110:111], v[132:133], s[12:13], v[136:137]
	v_add_f64 v[106:107], v[106:107], v[122:123]
	v_fma_f64 v[110:111], v[128:129], s[18:19], v[110:111]
	v_add_f64 v[106:107], v[106:107], v[124:125]
	v_fma_f64 v[114:115], v[138:139], s[6:7], v[110:111]
	v_fma_f64 v[110:111], v[132:133], s[16:17], v[136:137]
	v_add_f64 v[136:137], v[118:119], v[124:125]
	v_add_f64 v[118:119], v[120:121], -v[118:119]
	v_add_f64 v[120:121], v[122:123], -v[124:125]
	v_add_f64 v[122:123], v[130:131], v[170:171]
	v_fma_f64 v[110:111], v[128:129], s[4:5], v[110:111]
	v_fma_f64 v[22:23], v[136:137], -0.5, v[22:23]
	v_add_f64 v[120:121], v[118:119], v[120:121]
	v_fma_f64 v[122:123], v[122:123], -0.5, v[16:17]
	v_fma_f64 v[110:111], v[138:139], s[6:7], v[110:111]
	v_fma_f64 v[136:137], v[128:129], s[16:17], v[22:23]
	;; [unrolled: 1-line block ×3, first 2 shown]
	v_add_f64 v[138:139], v[154:155], -v[158:159]
	v_add_f64 v[128:129], v[126:127], -v[130:131]
	v_fma_f64 v[136:137], v[132:133], s[18:19], v[136:137]
	v_fma_f64 v[22:23], v[132:133], s[4:5], v[22:23]
	v_add_f64 v[132:133], v[172:173], -v[170:171]
	v_fma_f64 v[118:119], v[120:121], s[6:7], v[136:137]
	v_add_f64 v[136:137], v[134:135], -v[168:169]
	v_add_f64 v[132:133], v[128:129], v[132:133]
	v_fma_f64 v[22:23], v[120:121], s[6:7], v[22:23]
	v_add_f64 v[120:121], v[16:17], v[126:127]
	v_fma_f64 v[124:125], v[136:137], s[16:17], v[122:123]
	v_fma_f64 v[122:123], v[136:137], s[12:13], v[122:123]
	v_add_f64 v[120:121], v[120:121], v[130:131]
	v_fma_f64 v[124:125], v[138:139], s[4:5], v[124:125]
	;; [unrolled: 3-line block ×3, first 2 shown]
	v_fma_f64 v[124:125], v[132:133], s[6:7], v[122:123]
	v_add_f64 v[122:123], v[126:127], v[172:173]
	v_add_f64 v[132:133], v[130:131], -v[126:127]
	v_add_f64 v[120:121], v[120:121], v[172:173]
	v_fma_f64 v[16:17], v[122:123], -0.5, v[16:17]
	v_add_f64 v[160:161], v[132:133], v[160:161]
	v_fma_f64 v[122:123], v[138:139], s[12:13], v[16:17]
	v_fma_f64 v[16:17], v[138:139], s[16:17], v[16:17]
	v_add_f64 v[138:139], v[126:127], -v[172:173]
	v_fma_f64 v[122:123], v[136:137], s[4:5], v[122:123]
	v_fma_f64 v[16:17], v[136:137], s[18:19], v[16:17]
	v_add_f64 v[136:137], v[154:155], v[158:159]
	v_fma_f64 v[132:133], v[160:161], s[6:7], v[122:123]
	v_fma_f64 v[16:17], v[160:161], s[6:7], v[16:17]
	v_fma_f64 v[136:137], v[136:137], -0.5, v[18:19]
	v_add_f64 v[160:161], v[130:131], -v[170:171]
	v_add_f64 v[130:131], v[134:135], -v[154:155]
	v_add_f64 v[122:123], v[18:19], v[134:135]
	v_fma_f64 v[126:127], v[138:139], s[12:13], v[136:137]
	v_add_f64 v[162:163], v[130:131], v[162:163]
	v_add_f64 v[122:123], v[122:123], v[154:155]
	v_fma_f64 v[126:127], v[160:161], s[18:19], v[126:127]
	v_add_f64 v[122:123], v[122:123], v[158:159]
	v_fma_f64 v[130:131], v[162:163], s[6:7], v[126:127]
	v_fma_f64 v[126:127], v[138:139], s[16:17], v[136:137]
	v_add_f64 v[136:137], v[134:135], v[168:169]
	v_add_f64 v[134:135], v[154:155], -v[134:135]
	v_add_f64 v[154:155], v[158:159], -v[168:169]
	;; [unrolled: 1-line block ×3, first 2 shown]
	v_add_f64 v[122:123], v[122:123], v[168:169]
	v_fma_f64 v[126:127], v[160:161], s[4:5], v[126:127]
	v_fma_f64 v[18:19], v[136:137], -0.5, v[18:19]
	v_add_f64 v[154:155], v[134:135], v[154:155]
	v_add_f64 v[158:159], v[158:159], v[164:165]
	v_add_f64 v[164:165], v[150:151], -v[148:149]
	v_fma_f64 v[126:127], v[162:163], s[6:7], v[126:127]
	v_fma_f64 v[136:137], v[160:161], s[16:17], v[18:19]
	;; [unrolled: 1-line block ×3, first 2 shown]
	v_add_f64 v[160:161], v[140:141], -v[146:147]
	v_add_f64 v[162:163], v[142:143], -v[144:145]
	v_add_f64 v[164:165], v[164:165], v[166:167]
	v_fma_f64 v[136:137], v[138:139], s[18:19], v[136:137]
	v_fma_f64 v[18:19], v[138:139], s[4:5], v[18:19]
	v_add_f64 v[138:139], v[150:151], v[152:153]
	v_fma_f64 v[134:135], v[154:155], s[6:7], v[136:137]
	v_fma_f64 v[18:19], v[154:155], s[6:7], v[18:19]
	v_fma_f64 v[138:139], v[138:139], -0.5, v[12:13]
	v_add_f64 v[136:137], v[12:13], v[148:149]
	v_fma_f64 v[154:155], v[160:161], s[16:17], v[138:139]
	v_fma_f64 v[138:139], v[160:161], s[12:13], v[138:139]
	v_add_f64 v[136:137], v[136:137], v[150:151]
	v_add_f64 v[150:151], v[150:151], -v[152:153]
	v_fma_f64 v[154:155], v[162:163], s[4:5], v[154:155]
	v_fma_f64 v[138:139], v[162:163], s[18:19], v[138:139]
	v_add_f64 v[136:137], v[136:137], v[152:153]
	v_fma_f64 v[154:155], v[158:159], s[6:7], v[154:155]
	v_fma_f64 v[158:159], v[158:159], s[6:7], v[138:139]
	v_add_f64 v[138:139], v[148:149], v[156:157]
	v_add_f64 v[148:149], v[148:149], -v[156:157]
	v_add_f64 v[136:137], v[136:137], v[156:157]
	v_fma_f64 v[138:139], v[138:139], -0.5, v[12:13]
	v_fma_f64 v[12:13], v[162:163], s[12:13], v[138:139]
	v_fma_f64 v[138:139], v[162:163], s[16:17], v[138:139]
	;; [unrolled: 1-line block ×4, first 2 shown]
	v_add_f64 v[160:161], v[142:143], v[144:145]
	v_fma_f64 v[12:13], v[164:165], s[6:7], v[12:13]
	v_fma_f64 v[162:163], v[164:165], s[6:7], v[138:139]
	v_fma_f64 v[160:161], v[160:161], -0.5, v[14:15]
	v_add_f64 v[164:165], v[146:147], -v[144:145]
	v_add_f64 v[138:139], v[14:15], v[140:141]
	v_fma_f64 v[156:157], v[148:149], s[12:13], v[160:161]
	v_add_f64 v[138:139], v[138:139], v[142:143]
	v_fma_f64 v[152:153], v[150:151], s[18:19], v[156:157]
	v_add_f64 v[156:157], v[140:141], -v[142:143]
	v_add_f64 v[138:139], v[138:139], v[144:145]
	v_add_f64 v[164:165], v[156:157], v[164:165]
	;; [unrolled: 1-line block ×3, first 2 shown]
	v_fma_f64 v[156:157], v[164:165], s[6:7], v[152:153]
	v_fma_f64 v[152:153], v[148:149], s[16:17], v[160:161]
	;; [unrolled: 1-line block ×4, first 2 shown]
	v_add_f64 v[152:153], v[140:141], v[146:147]
	v_add_f64 v[140:141], v[142:143], -v[140:141]
	v_add_f64 v[142:143], v[144:145], -v[146:147]
	v_fma_f64 v[152:153], v[152:153], -0.5, v[14:15]
	v_add_f64 v[140:141], v[140:141], v[142:143]
	v_fma_f64 v[14:15], v[150:151], s[16:17], v[152:153]
	v_fma_f64 v[142:143], v[150:151], s[12:13], v[152:153]
	s_mov_b32 s12, 0xe976ee23
	s_mov_b32 s13, 0x3fe11646
	;; [unrolled: 1-line block ×4, first 2 shown]
	v_fma_f64 v[14:15], v[148:149], s[18:19], v[14:15]
	v_fma_f64 v[142:143], v[148:149], s[4:5], v[142:143]
	s_mov_b32 s4, 0x36b3c0b5
	s_mov_b32 s5, 0x3fac98ee
	;; [unrolled: 1-line block ×4, first 2 shown]
	v_fma_f64 v[14:15], v[140:141], s[6:7], v[14:15]
	v_fma_f64 v[164:165], v[140:141], s[6:7], v[142:143]
	ds_write_b128 v230, v[32:35]
	ds_write_b128 v230, v[40:43] offset:6160
	ds_write_b128 v230, v[48:51] offset:12320
	;; [unrolled: 1-line block ×34, first 2 shown]
	v_add_co_u32 v34, s0, 0x7850, v208
	v_add_co_ci_u32_e64 v35, s0, 0, v209, s0
	v_add_co_u32 v16, s0, 0x7800, v208
	v_add_co_ci_u32_e64 v17, s0, 0, v209, s0
	s_waitcnt lgkmcnt(0)
	s_waitcnt_vscnt null, 0x0
	s_barrier
	buffer_gl0_inv
	global_load_dwordx4 v[16:19], v[16:17], off offset:80
	ds_read_b128 v[12:15], v230
	v_add_co_u32 v36, s0, 0x8800, v208
	v_add_co_ci_u32_e64 v37, s0, 0, v209, s0
	v_add_co_u32 v38, s0, 0x9800, v208
	v_add_co_ci_u32_e64 v39, s0, 0, v209, s0
	s_mov_b32 s6, 0x37e14327
	s_mov_b32 s7, 0x3fe948f6
	s_waitcnt vmcnt(0) lgkmcnt(0)
	v_mul_f64 v[20:21], v[14:15], v[18:19]
	v_fma_f64 v[20:21], v[12:13], v[16:17], -v[20:21]
	v_mul_f64 v[12:13], v[12:13], v[18:19]
	v_fma_f64 v[22:23], v[14:15], v[16:17], v[12:13]
	global_load_dwordx4 v[16:19], v[36:37], off offset:384
	ds_read_b128 v[12:15], v230 offset:4400
	ds_write_b128 v230, v[20:23]
	s_waitcnt vmcnt(0) lgkmcnt(1)
	v_mul_f64 v[20:21], v[14:15], v[18:19]
	v_fma_f64 v[20:21], v[12:13], v[16:17], -v[20:21]
	v_mul_f64 v[12:13], v[12:13], v[18:19]
	v_fma_f64 v[22:23], v[14:15], v[16:17], v[12:13]
	global_load_dwordx4 v[16:19], v[38:39], off offset:688
	ds_read_b128 v[12:15], v230 offset:8800
	ds_write_b128 v230, v[20:23] offset:4400
	s_waitcnt vmcnt(0) lgkmcnt(1)
	v_mul_f64 v[20:21], v[14:15], v[18:19]
	v_fma_f64 v[20:21], v[12:13], v[16:17], -v[20:21]
	v_mul_f64 v[12:13], v[12:13], v[18:19]
	v_fma_f64 v[22:23], v[14:15], v[16:17], v[12:13]
	ds_read_b128 v[12:15], v230 offset:13200
	ds_write_b128 v230, v[20:23] offset:8800
	v_add_co_u32 v20, s0, 0xa800, v208
	v_add_co_ci_u32_e64 v21, s0, 0, v209, s0
	global_load_dwordx4 v[16:19], v[20:21], off offset:992
	s_waitcnt vmcnt(0) lgkmcnt(1)
	v_mul_f64 v[22:23], v[14:15], v[18:19]
	v_fma_f64 v[22:23], v[12:13], v[16:17], -v[22:23]
	v_mul_f64 v[12:13], v[12:13], v[18:19]
	v_add_co_u32 v18, s0, 0xb800, v208
	v_add_co_ci_u32_e64 v19, s0, 0, v209, s0
	v_fma_f64 v[24:25], v[14:15], v[16:17], v[12:13]
	ds_read_b128 v[12:15], v230 offset:17600
	ds_write_b128 v230, v[22:25] offset:13200
	global_load_dwordx4 v[22:25], v[18:19], off offset:1296
	s_waitcnt vmcnt(0) lgkmcnt(1)
	v_mul_f64 v[16:17], v[14:15], v[24:25]
	v_fma_f64 v[26:27], v[12:13], v[22:23], -v[16:17]
	v_mul_f64 v[12:13], v[12:13], v[24:25]
	v_add_co_u32 v16, s0, 0xc800, v208
	v_add_co_ci_u32_e64 v17, s0, 0, v209, s0
	v_fma_f64 v[28:29], v[14:15], v[22:23], v[12:13]
	global_load_dwordx4 v[22:25], v[16:17], off offset:1600
	ds_read_b128 v[12:15], v230 offset:22000
	ds_write_b128 v230, v[26:29] offset:17600
	s_waitcnt vmcnt(0) lgkmcnt(1)
	v_mul_f64 v[26:27], v[14:15], v[24:25]
	v_fma_f64 v[26:27], v[12:13], v[22:23], -v[26:27]
	v_mul_f64 v[12:13], v[12:13], v[24:25]
	v_fma_f64 v[28:29], v[14:15], v[22:23], v[12:13]
	v_add_co_u32 v12, s0, 0xd800, v208
	v_add_co_ci_u32_e64 v13, s0, 0, v209, s0
	ds_read_b128 v[22:25], v230 offset:26400
	ds_write_b128 v230, v[26:29] offset:22000
	global_load_dwordx4 v[26:29], v[12:13], off offset:1904
	s_waitcnt vmcnt(0) lgkmcnt(1)
	v_mul_f64 v[14:15], v[24:25], v[28:29]
	v_fma_f64 v[30:31], v[22:23], v[26:27], -v[14:15]
	v_mul_f64 v[14:15], v[22:23], v[28:29]
	v_fma_f64 v[32:33], v[24:25], v[26:27], v[14:15]
	global_load_dwordx4 v[26:29], v[34:35], off offset:880
	ds_read_b128 v[22:25], v230 offset:880
	ds_write_b128 v230, v[30:33] offset:26400
	s_waitcnt vmcnt(0) lgkmcnt(1)
	v_mul_f64 v[14:15], v[24:25], v[28:29]
	v_fma_f64 v[30:31], v[22:23], v[26:27], -v[14:15]
	v_mul_f64 v[14:15], v[22:23], v[28:29]
	v_fma_f64 v[32:33], v[24:25], v[26:27], v[14:15]
	global_load_dwordx4 v[26:29], v[36:37], off offset:1264
	ds_read_b128 v[22:25], v230 offset:5280
	ds_write_b128 v230, v[30:33] offset:880
	;; [unrolled: 8-line block ×4, first 2 shown]
	s_waitcnt vmcnt(0) lgkmcnt(1)
	v_mul_f64 v[14:15], v[24:25], v[28:29]
	v_fma_f64 v[30:31], v[22:23], v[26:27], -v[14:15]
	v_mul_f64 v[14:15], v[22:23], v[28:29]
	v_fma_f64 v[32:33], v[24:25], v[26:27], v[14:15]
	v_add_co_u32 v14, s0, 0xc000, v208
	v_add_co_ci_u32_e64 v15, s0, 0, v209, s0
	ds_read_b128 v[22:25], v230 offset:18480
	v_add_co_u32 v36, s0, 0xd000, v208
	global_load_dwordx4 v[26:29], v[14:15], off offset:128
	v_add_co_ci_u32_e64 v37, s0, 0, v209, s0
	v_add_co_u32 v38, s0, 0xe000, v208
	v_add_co_ci_u32_e64 v39, s0, 0, v209, s0
	ds_write_b128 v230, v[30:33] offset:14080
	s_waitcnt vmcnt(0) lgkmcnt(1)
	v_mul_f64 v[30:31], v[24:25], v[28:29]
	v_fma_f64 v[30:31], v[22:23], v[26:27], -v[30:31]
	v_mul_f64 v[22:23], v[22:23], v[28:29]
	v_fma_f64 v[32:33], v[24:25], v[26:27], v[22:23]
	global_load_dwordx4 v[26:29], v[36:37], off offset:432
	ds_read_b128 v[22:25], v230 offset:22880
	ds_write_b128 v230, v[30:33] offset:18480
	s_waitcnt vmcnt(0) lgkmcnt(1)
	v_mul_f64 v[30:31], v[24:25], v[28:29]
	v_fma_f64 v[30:31], v[22:23], v[26:27], -v[30:31]
	v_mul_f64 v[22:23], v[22:23], v[28:29]
	v_fma_f64 v[32:33], v[24:25], v[26:27], v[22:23]
	global_load_dwordx4 v[26:29], v[38:39], off offset:736
	ds_read_b128 v[22:25], v230 offset:27280
	;; [unrolled: 8-line block ×3, first 2 shown]
	ds_write_b128 v230, v[30:33] offset:27280
	s_waitcnt vmcnt(0) lgkmcnt(1)
	v_mul_f64 v[30:31], v[24:25], v[28:29]
	v_fma_f64 v[30:31], v[22:23], v[26:27], -v[30:31]
	v_mul_f64 v[22:23], v[22:23], v[28:29]
	v_fma_f64 v[32:33], v[24:25], v[26:27], v[22:23]
	v_add_co_u32 v22, s0, 0x9000, v208
	v_add_co_ci_u32_e64 v23, s0, 0, v209, s0
	ds_read_b128 v[24:27], v230 offset:6160
	v_add_co_u32 v40, s0, 0xa000, v208
	v_add_co_ci_u32_e64 v41, s0, 0, v209, s0
	v_add_co_u32 v42, s0, 0xb000, v208
	v_add_co_ci_u32_e64 v43, s0, 0, v209, s0
	ds_write_b128 v230, v[30:33] offset:1760
	global_load_dwordx4 v[28:31], v[22:23], off offset:96
	s_waitcnt vmcnt(0) lgkmcnt(1)
	v_mul_f64 v[32:33], v[26:27], v[30:31]
	v_fma_f64 v[32:33], v[24:25], v[28:29], -v[32:33]
	v_mul_f64 v[24:25], v[24:25], v[30:31]
	v_fma_f64 v[34:35], v[26:27], v[28:29], v[24:25]
	global_load_dwordx4 v[28:31], v[40:41], off offset:400
	ds_read_b128 v[24:27], v230 offset:10560
	ds_write_b128 v230, v[32:35] offset:6160
	s_waitcnt vmcnt(0) lgkmcnt(1)
	v_mul_f64 v[32:33], v[26:27], v[30:31]
	v_fma_f64 v[32:33], v[24:25], v[28:29], -v[32:33]
	v_mul_f64 v[24:25], v[24:25], v[30:31]
	v_fma_f64 v[34:35], v[26:27], v[28:29], v[24:25]
	global_load_dwordx4 v[28:31], v[42:43], off offset:704
	ds_read_b128 v[24:27], v230 offset:14960
	ds_write_b128 v230, v[32:35] offset:10560
	;; [unrolled: 8-line block ×5, first 2 shown]
	s_waitcnt vmcnt(0) lgkmcnt(1)
	v_mul_f64 v[32:33], v[26:27], v[30:31]
	v_fma_f64 v[32:33], v[24:25], v[28:29], -v[32:33]
	v_mul_f64 v[24:25], v[24:25], v[30:31]
	v_fma_f64 v[34:35], v[26:27], v[28:29], v[24:25]
	v_add_co_u32 v24, s0, 0x8000, v208
	v_add_co_ci_u32_e64 v25, s0, 0, v209, s0
	ds_read_b128 v[26:29], v230 offset:2640
	ds_write_b128 v230, v[32:35] offset:28160
	global_load_dwordx4 v[30:33], v[24:25], off offset:672
	s_waitcnt vmcnt(0) lgkmcnt(1)
	v_mul_f64 v[34:35], v[28:29], v[32:33]
	v_fma_f64 v[34:35], v[26:27], v[30:31], -v[34:35]
	v_mul_f64 v[26:27], v[26:27], v[32:33]
	v_fma_f64 v[36:37], v[28:29], v[30:31], v[26:27]
	global_load_dwordx4 v[30:33], v[22:23], off offset:976
	ds_read_b128 v[26:29], v230 offset:7040
	ds_write_b128 v230, v[34:37] offset:2640
	s_waitcnt vmcnt(0) lgkmcnt(1)
	v_mul_f64 v[34:35], v[28:29], v[32:33]
	v_fma_f64 v[34:35], v[26:27], v[30:31], -v[34:35]
	v_mul_f64 v[26:27], v[26:27], v[32:33]
	v_fma_f64 v[36:37], v[28:29], v[30:31], v[26:27]
	global_load_dwordx4 v[30:33], v[40:41], off offset:1280
	ds_read_b128 v[26:29], v230 offset:11440
	ds_write_b128 v230, v[34:37] offset:7040
	s_waitcnt vmcnt(0) lgkmcnt(1)
	v_mul_f64 v[34:35], v[28:29], v[32:33]
	v_fma_f64 v[34:35], v[26:27], v[30:31], -v[34:35]
	v_mul_f64 v[26:27], v[26:27], v[32:33]
	v_fma_f64 v[36:37], v[28:29], v[30:31], v[26:27]
	global_load_dwordx4 v[30:33], v[42:43], off offset:1584
	ds_read_b128 v[26:29], v230 offset:15840
	ds_write_b128 v230, v[34:37] offset:11440
	s_waitcnt vmcnt(0) lgkmcnt(1)
	v_mul_f64 v[34:35], v[28:29], v[32:33]
	v_fma_f64 v[34:35], v[26:27], v[30:31], -v[34:35]
	v_mul_f64 v[26:27], v[26:27], v[32:33]
	v_fma_f64 v[36:37], v[28:29], v[30:31], v[26:27]
	global_load_dwordx4 v[30:33], v[14:15], off offset:1888
	ds_read_b128 v[26:29], v230 offset:20240
	ds_write_b128 v230, v[34:37] offset:15840
	s_waitcnt vmcnt(0) lgkmcnt(1)
	v_mul_f64 v[14:15], v[28:29], v[32:33]
	v_fma_f64 v[34:35], v[26:27], v[30:31], -v[14:15]
	v_mul_f64 v[14:15], v[26:27], v[32:33]
	v_fma_f64 v[36:37], v[28:29], v[30:31], v[14:15]
	global_load_dwordx4 v[30:33], v[12:13], off offset:144
	ds_read_b128 v[26:29], v230 offset:24640
	ds_write_b128 v230, v[34:37] offset:20240
	s_waitcnt vmcnt(0) lgkmcnt(1)
	v_mul_f64 v[14:15], v[28:29], v[32:33]
	v_fma_f64 v[34:35], v[26:27], v[30:31], -v[14:15]
	v_mul_f64 v[14:15], v[26:27], v[32:33]
	v_fma_f64 v[36:37], v[28:29], v[30:31], v[14:15]
	v_add_co_u32 v14, s0, 0xe800, v208
	v_add_co_ci_u32_e64 v15, s0, 0, v209, s0
	ds_read_b128 v[26:29], v230 offset:29040
	s_mov_b32 s0, 0x429ad128
	s_mov_b32 s1, 0xbfebfeb5
	global_load_dwordx4 v[30:33], v[14:15], off offset:448
	ds_write_b128 v230, v[34:37] offset:24640
	s_waitcnt vmcnt(0) lgkmcnt(1)
	v_mul_f64 v[34:35], v[28:29], v[32:33]
	v_fma_f64 v[34:35], v[26:27], v[30:31], -v[34:35]
	v_mul_f64 v[26:27], v[26:27], v[32:33]
	v_fma_f64 v[36:37], v[28:29], v[30:31], v[26:27]
	global_load_dwordx4 v[30:33], v[24:25], off offset:1552
	ds_read_b128 v[26:29], v230 offset:3520
	ds_write_b128 v230, v[34:37] offset:29040
	s_waitcnt vmcnt(0) lgkmcnt(1)
	v_mul_f64 v[24:25], v[28:29], v[32:33]
	v_fma_f64 v[24:25], v[26:27], v[30:31], -v[24:25]
	v_mul_f64 v[26:27], v[26:27], v[32:33]
	v_fma_f64 v[26:27], v[28:29], v[30:31], v[26:27]
	global_load_dwordx4 v[28:31], v[22:23], off offset:1856
	ds_write_b128 v230, v[24:27] offset:3520
	ds_read_b128 v[24:27], v230 offset:7920
	s_waitcnt vmcnt(0) lgkmcnt(0)
	v_mul_f64 v[22:23], v[26:27], v[30:31]
	v_fma_f64 v[22:23], v[24:25], v[28:29], -v[22:23]
	v_mul_f64 v[24:25], v[24:25], v[30:31]
	v_fma_f64 v[24:25], v[26:27], v[28:29], v[24:25]
	global_load_dwordx4 v[26:29], v[20:21], off offset:112
	ds_write_b128 v230, v[22:25] offset:7920
	ds_read_b128 v[22:25], v230 offset:12320
	;; [unrolled: 8-line block ×5, first 2 shown]
	s_waitcnt vmcnt(0) lgkmcnt(0)
	v_mul_f64 v[12:13], v[18:19], v[22:23]
	v_fma_f64 v[24:25], v[16:17], v[20:21], -v[12:13]
	v_mul_f64 v[12:13], v[16:17], v[22:23]
	v_fma_f64 v[26:27], v[18:19], v[20:21], v[12:13]
	global_load_dwordx4 v[12:15], v[14:15], off offset:1328
	ds_read_b128 v[16:19], v230 offset:29920
	ds_write_b128 v230, v[24:27] offset:25520
	s_waitcnt vmcnt(0) lgkmcnt(1)
	v_mul_f64 v[20:21], v[18:19], v[14:15]
	v_mul_f64 v[14:15], v[16:17], v[14:15]
	v_fma_f64 v[20:21], v[16:17], v[12:13], -v[20:21]
	v_fma_f64 v[22:23], v[18:19], v[12:13], v[14:15]
	ds_write_b128 v230, v[20:23] offset:29920
	s_waitcnt lgkmcnt(0)
	s_barrier
	buffer_gl0_inv
	ds_read_b128 v[20:23], v230
	ds_read_b128 v[24:27], v230 offset:4400
	ds_read_b128 v[28:31], v230 offset:8800
	;; [unrolled: 1-line block ×34, first 2 shown]
	s_waitcnt lgkmcnt(0)
	s_barrier
	buffer_gl0_inv
	buffer_load_dword v0, off, s[40:43], 0 offset:1248 ; 4-byte Folded Reload
	v_add_f64 v[136:137], v[24:25], v[44:45]
	v_add_f64 v[138:139], v[26:27], v[46:47]
	v_add_f64 v[24:25], v[24:25], -v[44:45]
	v_add_f64 v[26:27], v[26:27], -v[46:47]
	v_add_f64 v[44:45], v[28:29], v[40:41]
	v_add_f64 v[46:47], v[30:31], v[42:43]
	v_add_f64 v[28:29], v[28:29], -v[40:41]
	v_add_f64 v[30:31], v[30:31], -v[42:43]
	;; [unrolled: 4-line block ×4, first 2 shown]
	v_add_f64 v[136:137], v[136:137], -v[40:41]
	v_add_f64 v[138:139], v[138:139], -v[42:43]
	;; [unrolled: 1-line block ×4, first 2 shown]
	v_add_f64 v[160:161], v[32:33], v[28:29]
	v_add_f64 v[162:163], v[34:35], v[30:31]
	v_add_f64 v[164:165], v[32:33], -v[28:29]
	v_add_f64 v[166:167], v[34:35], -v[30:31]
	v_add_f64 v[28:29], v[28:29], -v[24:25]
	v_add_f64 v[30:31], v[30:31], -v[26:27]
	v_add_f64 v[32:33], v[24:25], -v[32:33]
	v_add_f64 v[34:35], v[26:27], -v[34:35]
	v_add_f64 v[36:37], v[40:41], v[36:37]
	v_add_f64 v[38:39], v[42:43], v[38:39]
	v_mul_f64 v[40:41], v[136:137], s[6:7]
	v_mul_f64 v[42:43], v[138:139], s[6:7]
	;; [unrolled: 1-line block ×4, first 2 shown]
	v_add_f64 v[24:25], v[160:161], v[24:25]
	v_add_f64 v[26:27], v[162:163], v[26:27]
	v_mul_f64 v[160:161], v[164:165], s[12:13]
	v_mul_f64 v[162:163], v[166:167], s[12:13]
	;; [unrolled: 1-line block ×4, first 2 shown]
	v_add_f64 v[20:21], v[20:21], v[36:37]
	v_add_f64 v[22:23], v[22:23], v[38:39]
	v_fma_f64 v[44:45], v[44:45], s[4:5], v[40:41]
	v_fma_f64 v[46:47], v[46:47], s[4:5], v[42:43]
	v_fma_f64 v[136:137], v[156:157], s[16:17], -v[136:137]
	v_fma_f64 v[138:139], v[158:159], s[16:17], -v[138:139]
	;; [unrolled: 1-line block ×4, first 2 shown]
	v_fma_f64 v[156:157], v[32:33], s[22:23], v[160:161]
	v_fma_f64 v[158:159], v[34:35], s[22:23], v[162:163]
	v_fma_f64 v[28:29], v[28:29], s[0:1], -v[160:161]
	v_fma_f64 v[30:31], v[30:31], s[0:1], -v[162:163]
	;; [unrolled: 1-line block ×4, first 2 shown]
	v_fma_f64 v[36:37], v[36:37], s[14:15], v[20:21]
	v_fma_f64 v[38:39], v[38:39], s[14:15], v[22:23]
	;; [unrolled: 1-line block ×8, first 2 shown]
	v_add_f64 v[160:161], v[44:45], v[36:37]
	v_add_f64 v[162:163], v[46:47], v[38:39]
	;; [unrolled: 1-line block ×7, first 2 shown]
	v_add_f64 v[46:47], v[162:163], -v[156:157]
	v_add_f64 v[40:41], v[164:165], v[26:27]
	v_add_f64 v[42:43], v[166:167], -v[24:25]
	v_add_f64 v[36:37], v[136:137], -v[30:31]
	v_add_f64 v[38:39], v[28:29], v[138:139]
	v_add_f64 v[32:33], v[136:137], v[30:31]
	v_add_f64 v[34:35], v[138:139], -v[28:29]
	v_add_f64 v[28:29], v[164:165], -v[26:27]
	v_add_f64 v[30:31], v[24:25], v[166:167]
	v_add_f64 v[24:25], v[160:161], -v[158:159]
	v_add_f64 v[26:27], v[156:157], v[162:163]
	s_waitcnt vmcnt(0)
	ds_write_b128 v0, v[20:23]
	ds_write_b128 v0, v[44:47] offset:16
	ds_write_b128 v0, v[40:43] offset:32
	;; [unrolled: 1-line block ×6, first 2 shown]
	buffer_load_dword v0, off, s[40:43], 0 offset:1244 ; 4-byte Folded Reload
	v_add_f64 v[136:137], v[68:69], v[72:73]
	v_add_f64 v[138:139], v[70:71], v[74:75]
	v_add_f64 v[68:69], v[68:69], -v[72:73]
	v_add_f64 v[70:71], v[70:71], -v[74:75]
	v_add_f64 v[72:73], v[60:61], v[64:65]
	v_add_f64 v[74:75], v[62:63], v[66:67]
	v_add_f64 v[60:61], v[60:61], -v[64:65]
	v_add_f64 v[62:63], v[62:63], -v[66:67]
	;; [unrolled: 4-line block ×4, first 2 shown]
	v_add_f64 v[136:137], v[136:137], -v[64:65]
	v_add_f64 v[138:139], v[138:139], -v[66:67]
	;; [unrolled: 1-line block ×4, first 2 shown]
	v_add_f64 v[160:161], v[52:53], v[60:61]
	v_add_f64 v[162:163], v[54:55], v[62:63]
	v_add_f64 v[164:165], v[52:53], -v[60:61]
	v_add_f64 v[166:167], v[54:55], -v[62:63]
	;; [unrolled: 1-line block ×6, first 2 shown]
	v_add_f64 v[56:57], v[64:65], v[56:57]
	v_add_f64 v[58:59], v[66:67], v[58:59]
	;; [unrolled: 1-line block ×4, first 2 shown]
	v_mul_f64 v[68:69], v[136:137], s[6:7]
	v_mul_f64 v[70:71], v[138:139], s[6:7]
	;; [unrolled: 1-line block ×8, first 2 shown]
	v_add_f64 v[48:49], v[48:49], v[56:57]
	v_add_f64 v[50:51], v[50:51], v[58:59]
	v_fma_f64 v[72:73], v[72:73], s[4:5], v[68:69]
	v_fma_f64 v[74:75], v[74:75], s[4:5], v[70:71]
	v_fma_f64 v[136:137], v[156:157], s[16:17], -v[136:137]
	v_fma_f64 v[138:139], v[158:159], s[16:17], -v[138:139]
	;; [unrolled: 1-line block ×4, first 2 shown]
	v_fma_f64 v[156:157], v[52:53], s[22:23], v[160:161]
	v_fma_f64 v[158:159], v[54:55], s[22:23], v[162:163]
	v_fma_f64 v[52:53], v[52:53], s[24:25], -v[164:165]
	v_fma_f64 v[54:55], v[54:55], s[24:25], -v[166:167]
	;; [unrolled: 1-line block ×4, first 2 shown]
	v_fma_f64 v[56:57], v[56:57], s[14:15], v[48:49]
	v_fma_f64 v[58:59], v[58:59], s[14:15], v[50:51]
	;; [unrolled: 1-line block ×8, first 2 shown]
	v_add_f64 v[160:161], v[72:73], v[56:57]
	v_add_f64 v[162:163], v[74:75], v[58:59]
	;; [unrolled: 1-line block ×7, first 2 shown]
	v_add_f64 v[74:75], v[162:163], -v[156:157]
	v_add_f64 v[64:65], v[136:137], -v[60:61]
	v_add_f64 v[66:67], v[164:165], v[138:139]
	v_add_f64 v[68:69], v[56:57], v[54:55]
	v_add_f64 v[70:71], v[58:59], -v[52:53]
	v_add_f64 v[60:61], v[136:137], v[60:61]
	v_add_f64 v[62:63], v[138:139], -v[164:165]
	v_add_f64 v[56:57], v[56:57], -v[54:55]
	v_add_f64 v[58:59], v[52:53], v[58:59]
	v_add_f64 v[52:53], v[160:161], -v[158:159]
	v_add_f64 v[54:55], v[156:157], v[162:163]
	s_waitcnt vmcnt(0)
	ds_write_b128 v0, v[48:51]
	ds_write_b128 v0, v[72:75] offset:16
	ds_write_b128 v0, v[68:71] offset:32
	;; [unrolled: 1-line block ×6, first 2 shown]
	buffer_load_dword v0, off, s[40:43], 0 offset:1192 ; 4-byte Folded Reload
	v_add_f64 v[136:137], v[116:117], v[120:121]
	v_add_f64 v[138:139], v[118:119], v[122:123]
	v_add_f64 v[116:117], v[116:117], -v[120:121]
	v_add_f64 v[118:119], v[118:119], -v[122:123]
	v_add_f64 v[120:121], v[108:109], v[112:113]
	v_add_f64 v[122:123], v[110:111], v[114:115]
	v_add_f64 v[108:109], v[108:109], -v[112:113]
	v_add_f64 v[110:111], v[110:111], -v[114:115]
	;; [unrolled: 4-line block ×4, first 2 shown]
	v_add_f64 v[136:137], v[136:137], -v[112:113]
	v_add_f64 v[138:139], v[138:139], -v[114:115]
	;; [unrolled: 1-line block ×4, first 2 shown]
	v_add_f64 v[160:161], v[100:101], v[108:109]
	v_add_f64 v[162:163], v[102:103], v[110:111]
	v_add_f64 v[164:165], v[100:101], -v[108:109]
	v_add_f64 v[166:167], v[102:103], -v[110:111]
	;; [unrolled: 1-line block ×6, first 2 shown]
	v_add_f64 v[104:105], v[112:113], v[104:105]
	v_add_f64 v[106:107], v[114:115], v[106:107]
	;; [unrolled: 1-line block ×4, first 2 shown]
	v_mul_f64 v[116:117], v[136:137], s[6:7]
	v_mul_f64 v[118:119], v[138:139], s[6:7]
	;; [unrolled: 1-line block ×8, first 2 shown]
	v_add_f64 v[96:97], v[96:97], v[104:105]
	v_add_f64 v[98:99], v[98:99], v[106:107]
	v_fma_f64 v[120:121], v[120:121], s[4:5], v[116:117]
	v_fma_f64 v[122:123], v[122:123], s[4:5], v[118:119]
	v_fma_f64 v[136:137], v[156:157], s[16:17], -v[136:137]
	v_fma_f64 v[138:139], v[158:159], s[16:17], -v[138:139]
	;; [unrolled: 1-line block ×4, first 2 shown]
	v_fma_f64 v[156:157], v[100:101], s[22:23], v[160:161]
	v_fma_f64 v[158:159], v[102:103], s[22:23], v[162:163]
	v_fma_f64 v[100:101], v[100:101], s[24:25], -v[164:165]
	v_fma_f64 v[102:103], v[102:103], s[24:25], -v[166:167]
	;; [unrolled: 1-line block ×4, first 2 shown]
	v_fma_f64 v[104:105], v[104:105], s[14:15], v[96:97]
	v_fma_f64 v[106:107], v[106:107], s[14:15], v[98:99]
	;; [unrolled: 1-line block ×8, first 2 shown]
	v_add_f64 v[160:161], v[120:121], v[104:105]
	v_add_f64 v[162:163], v[122:123], v[106:107]
	;; [unrolled: 1-line block ×7, first 2 shown]
	v_add_f64 v[122:123], v[162:163], -v[156:157]
	v_add_f64 v[112:113], v[136:137], -v[108:109]
	v_add_f64 v[114:115], v[164:165], v[138:139]
	v_add_f64 v[116:117], v[104:105], v[102:103]
	v_add_f64 v[118:119], v[106:107], -v[100:101]
	v_add_f64 v[108:109], v[136:137], v[108:109]
	v_add_f64 v[110:111], v[138:139], -v[164:165]
	v_add_f64 v[104:105], v[104:105], -v[102:103]
	v_add_f64 v[106:107], v[100:101], v[106:107]
	v_add_f64 v[100:101], v[160:161], -v[158:159]
	v_add_f64 v[102:103], v[156:157], v[162:163]
	s_waitcnt vmcnt(0)
	ds_write_b128 v0, v[96:99]
	ds_write_b128 v0, v[120:123] offset:16
	ds_write_b128 v0, v[116:119] offset:32
	;; [unrolled: 1-line block ×6, first 2 shown]
	buffer_load_dword v20, off, s[40:43], 0 offset:824 ; 4-byte Folded Reload
	v_add_f64 v[136:137], v[148:149], v[152:153]
	v_add_f64 v[138:139], v[150:151], v[154:155]
	v_add_f64 v[148:149], v[148:149], -v[152:153]
	v_add_f64 v[150:151], v[150:151], -v[154:155]
	v_add_f64 v[152:153], v[140:141], v[144:145]
	v_add_f64 v[154:155], v[142:143], v[146:147]
	v_add_f64 v[140:141], v[140:141], -v[144:145]
	v_add_f64 v[142:143], v[142:143], -v[146:147]
	;; [unrolled: 4-line block ×4, first 2 shown]
	v_add_f64 v[136:137], v[136:137], -v[144:145]
	v_add_f64 v[138:139], v[138:139], -v[146:147]
	;; [unrolled: 1-line block ×4, first 2 shown]
	v_add_f64 v[160:161], v[128:129], v[140:141]
	v_add_f64 v[162:163], v[130:131], v[142:143]
	v_add_f64 v[164:165], v[128:129], -v[140:141]
	v_add_f64 v[166:167], v[130:131], -v[142:143]
	;; [unrolled: 1-line block ×6, first 2 shown]
	v_add_f64 v[132:133], v[144:145], v[132:133]
	v_add_f64 v[134:135], v[146:147], v[134:135]
	v_mul_f64 v[136:137], v[136:137], s[6:7]
	v_mul_f64 v[138:139], v[138:139], s[6:7]
	v_add_f64 v[144:145], v[160:161], v[148:149]
	v_add_f64 v[146:147], v[162:163], v[150:151]
	v_mul_f64 v[148:149], v[152:153], s[4:5]
	v_mul_f64 v[150:151], v[154:155], s[4:5]
	;; [unrolled: 1-line block ×6, first 2 shown]
	v_add_f64 v[124:125], v[124:125], v[132:133]
	v_add_f64 v[126:127], v[126:127], v[134:135]
	v_fma_f64 v[152:153], v[152:153], s[4:5], v[136:137]
	v_fma_f64 v[154:155], v[154:155], s[4:5], v[138:139]
	v_fma_f64 v[136:137], v[156:157], s[18:19], -v[136:137]
	v_fma_f64 v[138:139], v[158:159], s[18:19], -v[138:139]
	v_fma_f64 v[148:149], v[156:157], s[16:17], -v[148:149]
	v_fma_f64 v[150:151], v[158:159], s[16:17], -v[150:151]
	v_fma_f64 v[156:157], v[128:129], s[22:23], v[160:161]
	v_fma_f64 v[158:159], v[130:131], s[22:23], v[162:163]
	v_fma_f64 v[128:129], v[128:129], s[24:25], -v[164:165]
	v_fma_f64 v[130:131], v[130:131], s[24:25], -v[166:167]
	;; [unrolled: 1-line block ×4, first 2 shown]
	v_fma_f64 v[132:133], v[132:133], s[14:15], v[124:125]
	v_fma_f64 v[134:135], v[134:135], s[14:15], v[126:127]
	;; [unrolled: 1-line block ×4, first 2 shown]
	v_add_f64 v[160:161], v[152:153], v[132:133]
	v_add_f64 v[162:163], v[154:155], v[134:135]
	;; [unrolled: 1-line block ×6, first 2 shown]
	v_fma_f64 v[136:137], v[144:145], s[20:21], v[156:157]
	v_fma_f64 v[138:139], v[146:147], s[20:21], v[158:159]
	;; [unrolled: 1-line block ×4, first 2 shown]
	v_add_f64 v[148:149], v[132:133], v[130:131]
	v_add_f64 v[150:151], v[134:135], -v[128:129]
	v_add_f64 v[154:155], v[162:163], -v[136:137]
	v_add_f64 v[152:153], v[160:161], v[138:139]
	v_add_f64 v[146:147], v[156:157], v[166:167]
	v_add_f64 v[144:145], v[164:165], -v[140:141]
	v_add_f64 v[140:141], v[164:165], v[140:141]
	v_add_f64 v[142:143], v[166:167], -v[156:157]
	v_add_f64 v[132:133], v[132:133], -v[130:131]
	v_add_f64 v[134:135], v[128:129], v[134:135]
	v_add_f64 v[128:129], v[160:161], -v[138:139]
	v_add_f64 v[130:131], v[136:137], v[162:163]
	s_waitcnt vmcnt(0)
	ds_write_b128 v20, v[124:127]
	ds_write_b128 v20, v[152:155] offset:16
	ds_write_b128 v20, v[148:151] offset:32
	ds_write_b128 v20, v[144:147] offset:48
	ds_write_b128 v20, v[140:143] offset:64
	ds_write_b128 v20, v[132:135] offset:80
	ds_write_b128 v20, v[128:131] offset:96
	buffer_load_dword v20, off, s[40:43], 0 offset:740 ; 4-byte Folded Reload
	v_add_f64 v[136:137], v[88:89], v[92:93]
	v_add_f64 v[138:139], v[90:91], v[94:95]
	v_add_f64 v[88:89], v[88:89], -v[92:93]
	v_add_f64 v[90:91], v[90:91], -v[94:95]
	v_add_f64 v[92:93], v[80:81], v[84:85]
	v_add_f64 v[94:95], v[82:83], v[86:87]
	v_add_f64 v[80:81], v[80:81], -v[84:85]
	v_add_f64 v[82:83], v[82:83], -v[86:87]
	;; [unrolled: 4-line block ×4, first 2 shown]
	v_add_f64 v[136:137], v[136:137], -v[84:85]
	v_add_f64 v[138:139], v[138:139], -v[86:87]
	;; [unrolled: 1-line block ×4, first 2 shown]
	v_add_f64 v[160:161], v[16:17], v[80:81]
	v_add_f64 v[162:163], v[18:19], v[82:83]
	v_add_f64 v[164:165], v[16:17], -v[80:81]
	v_add_f64 v[166:167], v[18:19], -v[82:83]
	;; [unrolled: 1-line block ×6, first 2 shown]
	v_add_f64 v[84:85], v[84:85], v[76:77]
	v_add_f64 v[86:87], v[86:87], v[78:79]
	;; [unrolled: 1-line block ×4, first 2 shown]
	v_mul_f64 v[160:161], v[164:165], s[12:13]
	v_mul_f64 v[162:163], v[166:167], s[12:13]
	;; [unrolled: 1-line block ×4, first 2 shown]
	v_add_f64 v[76:77], v[12:13], v[84:85]
	v_add_f64 v[78:79], v[14:15], v[86:87]
	v_mul_f64 v[12:13], v[136:137], s[6:7]
	v_mul_f64 v[14:15], v[138:139], s[6:7]
	;; [unrolled: 1-line block ×4, first 2 shown]
	v_fma_f64 v[80:81], v[80:81], s[0:1], -v[160:161]
	v_fma_f64 v[82:83], v[82:83], s[0:1], -v[162:163]
	v_fma_f64 v[84:85], v[84:85], s[14:15], v[76:77]
	v_fma_f64 v[86:87], v[86:87], s[14:15], v[78:79]
	;; [unrolled: 1-line block ×4, first 2 shown]
	v_fma_f64 v[136:137], v[156:157], s[16:17], -v[136:137]
	v_fma_f64 v[138:139], v[158:159], s[16:17], -v[138:139]
	;; [unrolled: 1-line block ×4, first 2 shown]
	v_fma_f64 v[156:157], v[16:17], s[22:23], v[160:161]
	v_fma_f64 v[158:159], v[18:19], s[22:23], v[162:163]
	v_fma_f64 v[16:17], v[16:17], s[24:25], -v[164:165]
	v_fma_f64 v[18:19], v[18:19], s[24:25], -v[166:167]
	v_fma_f64 v[164:165], v[88:89], s[20:21], v[80:81]
	v_fma_f64 v[80:81], v[90:91], s[20:21], v[82:83]
	v_add_f64 v[160:161], v[92:93], v[84:85]
	v_add_f64 v[162:163], v[94:95], v[86:87]
	;; [unrolled: 1-line block ×6, first 2 shown]
	v_fma_f64 v[156:157], v[88:89], s[20:21], v[156:157]
	v_fma_f64 v[158:159], v[90:91], s[20:21], v[158:159]
	;; [unrolled: 1-line block ×4, first 2 shown]
	v_add_f64 v[84:85], v[136:137], -v[80:81]
	v_add_f64 v[86:87], v[164:165], v[138:139]
	v_add_f64 v[80:81], v[136:137], v[80:81]
	v_add_f64 v[82:83], v[138:139], -v[164:165]
	v_add_f64 v[3:4], v[156:157], v[162:163]
	v_add_f64 v[1:2], v[160:161], -v[158:159]
	;; [unrolled: 2-line block ×4, first 2 shown]
	v_add_f64 v[12:13], v[12:13], -v[18:19]
	v_add_f64 v[14:15], v[16:17], v[14:15]
	s_waitcnt vmcnt(0)
	ds_write_b128 v20, v[76:79]
	ds_write_b128 v20, v[92:95] offset:16
	ds_write_b128 v20, v[88:91] offset:32
	;; [unrolled: 1-line block ×5, first 2 shown]
	buffer_store_dword v1, off, s[40:43], 0 offset:824 ; 4-byte Folded Spill
	buffer_store_dword v2, off, s[40:43], 0 offset:828 ; 4-byte Folded Spill
	;; [unrolled: 1-line block ×4, first 2 shown]
	ds_write_b128 v20, v[1:4] offset:96
	s_waitcnt lgkmcnt(0)
	s_waitcnt_vscnt null, 0x0
	s_barrier
	buffer_gl0_inv
	ds_read_b128 v[28:31], v230
	ds_read_b128 v[152:155], v230 offset:2800
	ds_read_b128 v[148:151], v230 offset:5600
	;; [unrolled: 1-line block ×32, first 2 shown]
	s_and_saveexec_b32 s0, vcc_lo
	s_cbranch_execz .LBB0_7
; %bb.6:
	ds_read_b128 v[12:15], v230 offset:2640
	ds_read_b128 v[0:3], v230 offset:5440
	s_waitcnt lgkmcnt(0)
	buffer_store_dword v0, off, s[40:43], 0 offset:824 ; 4-byte Folded Spill
	buffer_store_dword v1, off, s[40:43], 0 offset:828 ; 4-byte Folded Spill
	buffer_store_dword v2, off, s[40:43], 0 offset:832 ; 4-byte Folded Spill
	buffer_store_dword v3, off, s[40:43], 0 offset:836 ; 4-byte Folded Spill
	ds_read_b128 v[0:3], v230 offset:8240
	s_waitcnt lgkmcnt(0)
	buffer_store_dword v0, off, s[40:43], 0 offset:36 ; 4-byte Folded Spill
	buffer_store_dword v1, off, s[40:43], 0 offset:40 ; 4-byte Folded Spill
	buffer_store_dword v2, off, s[40:43], 0 offset:44 ; 4-byte Folded Spill
	buffer_store_dword v3, off, s[40:43], 0 offset:48 ; 4-byte Folded Spill
	;; [unrolled: 6-line block ×10, first 2 shown]
.LBB0_7:
	s_or_b32 exec_lo, exec_lo, s0
	s_clause 0x3
	buffer_load_dword v156, off, s[40:43], 0 offset:920
	buffer_load_dword v157, off, s[40:43], 0 offset:924
	;; [unrolled: 1-line block ×4, first 2 shown]
	s_mov_b32 s16, 0xf8bb580b
	s_mov_b32 s0, 0x8764f0ba
	;; [unrolled: 1-line block ×30, first 2 shown]
	s_waitcnt vmcnt(0) lgkmcnt(31)
	v_mul_f64 v[136:137], v[158:159], v[154:155]
	v_fma_f64 v[186:187], v[156:157], v[152:153], v[136:137]
	v_mul_f64 v[136:137], v[158:159], v[152:153]
	v_fma_f64 v[138:139], v[156:157], v[154:155], -v[136:137]
	s_clause 0x3
	buffer_load_dword v152, off, s[40:43], 0 offset:904
	buffer_load_dword v153, off, s[40:43], 0 offset:908
	;; [unrolled: 1-line block ×4, first 2 shown]
	s_waitcnt vmcnt(0) lgkmcnt(30)
	v_mul_f64 v[136:137], v[154:155], v[150:151]
	v_fma_f64 v[188:189], v[152:153], v[148:149], v[136:137]
	v_mul_f64 v[136:137], v[154:155], v[148:149]
	v_fma_f64 v[190:191], v[152:153], v[150:151], -v[136:137]
	s_clause 0x3
	buffer_load_dword v150, off, s[40:43], 0 offset:888
	buffer_load_dword v151, off, s[40:43], 0 offset:892
	;; [unrolled: 1-line block ×4, first 2 shown]
	s_waitcnt vmcnt(0) lgkmcnt(29)
	v_mul_f64 v[136:137], v[152:153], v[146:147]
	v_mul_f64 v[148:149], v[152:153], v[144:145]
	v_fma_f64 v[180:181], v[150:151], v[144:145], v[136:137]
	v_fma_f64 v[184:185], v[150:151], v[146:147], -v[148:149]
	s_clause 0xf
	buffer_load_dword v148, off, s[40:43], 0 offset:840
	buffer_load_dword v149, off, s[40:43], 0 offset:844
	;; [unrolled: 1-line block ×16, first 2 shown]
	s_waitcnt vmcnt(12) lgkmcnt(28)
	v_mul_f64 v[136:137], v[150:151], v[142:143]
	v_mul_f64 v[144:145], v[150:151], v[140:141]
	s_waitcnt vmcnt(8) lgkmcnt(27)
	v_mul_f64 v[146:147], v[154:155], v[134:135]
	v_mul_f64 v[150:151], v[154:155], v[132:133]
	v_fma_f64 v[156:157], v[148:149], v[140:141], v[136:137]
	v_fma_f64 v[158:159], v[148:149], v[142:143], -v[144:145]
	s_waitcnt vmcnt(4) lgkmcnt(26)
	v_mul_f64 v[136:137], v[164:165], v[130:131]
	v_mul_f64 v[140:141], v[164:165], v[128:129]
	s_waitcnt vmcnt(0) lgkmcnt(25)
	v_mul_f64 v[142:143], v[170:171], v[126:127]
	v_mul_f64 v[144:145], v[170:171], v[124:125]
	s_clause 0x13
	buffer_load_dword v164, off, s[40:43], 0 offset:776
	buffer_load_dword v165, off, s[40:43], 0 offset:780
	buffer_load_dword v166, off, s[40:43], 0 offset:784
	buffer_load_dword v167, off, s[40:43], 0 offset:788
	buffer_load_dword v174, off, s[40:43], 0 offset:856
	buffer_load_dword v175, off, s[40:43], 0 offset:860
	buffer_load_dword v176, off, s[40:43], 0 offset:864
	buffer_load_dword v177, off, s[40:43], 0 offset:868
	buffer_load_dword v170, off, s[40:43], 0 offset:792
	buffer_load_dword v171, off, s[40:43], 0 offset:796
	buffer_load_dword v172, off, s[40:43], 0 offset:800
	buffer_load_dword v173, off, s[40:43], 0 offset:804
	buffer_load_dword v214, off, s[40:43], 0 offset:1048
	buffer_load_dword v215, off, s[40:43], 0 offset:1052
	buffer_load_dword v216, off, s[40:43], 0 offset:1056
	buffer_load_dword v217, off, s[40:43], 0 offset:1060
	buffer_load_dword v202, off, s[40:43], 0 offset:984
	buffer_load_dword v203, off, s[40:43], 0 offset:988
	buffer_load_dword v204, off, s[40:43], 0 offset:992
	buffer_load_dword v205, off, s[40:43], 0 offset:996
	v_fma_f64 v[148:149], v[152:153], v[132:133], v[146:147]
	v_fma_f64 v[152:153], v[152:153], v[134:135], -v[150:151]
	s_clause 0x3
	buffer_load_dword v210, off, s[40:43], 0 offset:952
	buffer_load_dword v211, off, s[40:43], 0 offset:956
	;; [unrolled: 1-line block ×4, first 2 shown]
	v_fma_f64 v[150:151], v[162:163], v[128:129], v[136:137]
	v_fma_f64 v[154:155], v[162:163], v[130:131], -v[140:141]
	v_fma_f64 v[162:163], v[168:169], v[124:125], v[142:143]
	s_waitcnt vmcnt(20) lgkmcnt(24)
	v_mul_f64 v[132:133], v[166:167], v[122:123]
	v_mul_f64 v[134:135], v[166:167], v[120:121]
	v_fma_f64 v[166:167], v[168:169], v[126:127], -v[144:145]
	s_waitcnt vmcnt(16) lgkmcnt(23)
	v_mul_f64 v[146:147], v[176:177], v[118:119]
	s_waitcnt vmcnt(4) lgkmcnt(19)
	v_mul_f64 v[124:125], v[204:205], v[106:107]
	v_mul_f64 v[126:127], v[204:205], v[104:105]
	s_clause 0x3
	buffer_load_dword v204, off, s[40:43], 0 offset:936
	buffer_load_dword v205, off, s[40:43], 0 offset:940
	buffer_load_dword v206, off, s[40:43], 0 offset:944
	buffer_load_dword v207, off, s[40:43], 0 offset:948
	v_mul_f64 v[160:161], v[176:177], v[116:117]
	v_mul_f64 v[128:129], v[172:173], v[110:111]
	;; [unrolled: 1-line block ×3, first 2 shown]
	s_clause 0x3
	buffer_load_dword v222, off, s[40:43], 0 offset:1112
	buffer_load_dword v223, off, s[40:43], 0 offset:1116
	;; [unrolled: 1-line block ×4, first 2 shown]
	v_mul_f64 v[136:137], v[216:217], v[114:115]
	v_mul_f64 v[140:141], v[216:217], v[112:113]
	s_waitcnt vmcnt(8) lgkmcnt(18)
	v_mul_f64 v[142:143], v[212:213], v[102:103]
	v_mul_f64 v[144:145], v[212:213], v[100:101]
	v_fma_f64 v[182:183], v[164:165], v[120:121], v[132:133]
	v_fma_f64 v[192:193], v[164:165], v[122:123], -v[134:135]
	v_add_f64 v[120:121], v[28:29], v[186:187]
	v_fma_f64 v[194:195], v[174:175], v[116:117], v[146:147]
	v_add_f64 v[122:123], v[30:31], v[138:139]
	v_fma_f64 v[106:107], v[202:203], v[106:107], -v[126:127]
	v_fma_f64 v[196:197], v[174:175], v[118:119], -v[160:161]
	v_fma_f64 v[198:199], v[170:171], v[108:109], v[128:129]
	v_fma_f64 v[108:109], v[202:203], v[104:105], v[124:125]
	v_fma_f64 v[200:201], v[170:171], v[110:111], -v[130:131]
	v_fma_f64 v[160:161], v[214:215], v[112:113], v[136:137]
	v_fma_f64 v[164:165], v[214:215], v[114:115], -v[140:141]
	;; [unrolled: 2-line block ×3, first 2 shown]
	v_add_f64 v[120:121], v[120:121], v[188:189]
	v_add_f64 v[122:123], v[122:123], v[190:191]
	;; [unrolled: 1-line block ×3, first 2 shown]
	s_waitcnt vmcnt(4) lgkmcnt(17)
	v_mul_f64 v[132:133], v[206:207], v[98:99]
	v_mul_f64 v[134:135], v[206:207], v[96:97]
	s_clause 0x1f
	buffer_load_dword v206, off, s[40:43], 0 offset:968
	buffer_load_dword v207, off, s[40:43], 0 offset:972
	;; [unrolled: 1-line block ×32, first 2 shown]
	s_waitcnt vmcnt(32) lgkmcnt(16)
	v_mul_f64 v[116:117], v[224:225], v[94:95]
	v_mul_f64 v[118:119], v[224:225], v[92:93]
	v_fma_f64 v[10:11], v[204:205], v[96:97], v[132:133]
	s_waitcnt vmcnt(28) lgkmcnt(15)
	v_mul_f64 v[146:147], v[208:209], v[90:91]
	v_mul_f64 v[168:169], v[208:209], v[88:89]
	s_waitcnt vmcnt(20) lgkmcnt(13)
	v_mul_f64 v[130:131], v[174:175], v[42:43]
	s_waitcnt vmcnt(16) lgkmcnt(12)
	v_mul_f64 v[112:113], v[244:245], v[38:39]
	v_mul_f64 v[114:115], v[244:245], v[36:37]
	s_waitcnt vmcnt(12) lgkmcnt(11)
	v_mul_f64 v[136:137], v[240:241], v[46:47]
	;; [unrolled: 3-line block ×3, first 2 shown]
	v_mul_f64 v[126:127], v[2:3], v[48:49]
	s_clause 0x3
	buffer_load_dword v244, off, s[40:43], 0 offset:1064
	buffer_load_dword v245, off, s[40:43], 0 offset:1068
	;; [unrolled: 1-line block ×4, first 2 shown]
	v_fma_f64 v[240:241], v[204:205], v[98:99], -v[134:135]
	s_clause 0xf
	buffer_load_dword v96, off, s[40:43], 0 offset:1196
	buffer_load_dword v97, off, s[40:43], 0 offset:1200
	;; [unrolled: 1-line block ×16, first 2 shown]
	v_mul_f64 v[170:171], v[174:175], v[40:41]
	v_mul_f64 v[110:111], v[178:179], v[86:87]
	;; [unrolled: 1-line block ×3, first 2 shown]
	s_waitcnt vmcnt(24) lgkmcnt(8)
	v_mul_f64 v[202:203], v[254:255], v[54:55]
	v_mul_f64 v[208:209], v[254:255], v[52:53]
	s_waitcnt vmcnt(20) lgkmcnt(7)
	v_mul_f64 v[142:143], v[250:251], v[62:63]
	v_mul_f64 v[210:211], v[250:251], v[60:61]
	v_fma_f64 v[174:175], v[242:243], v[38:39], -v[114:115]
	v_add_f64 v[38:39], v[138:139], v[200:201]
	v_fma_f64 v[178:179], v[238:239], v[46:47], -v[140:141]
	v_add_f64 v[46:47], v[190:191], v[196:197]
	v_fma_f64 v[170:171], v[172:173], v[42:43], -v[170:171]
	v_fma_f64 v[140:141], v[252:253], v[52:53], v[202:203]
	v_fma_f64 v[144:145], v[252:253], v[54:55], -v[208:209]
	v_fma_f64 v[132:133], v[248:249], v[60:61], v[142:143]
	v_mul_f64 v[54:55], v[38:39], s[0:1]
	s_waitcnt vmcnt(16) lgkmcnt(6)
	v_mul_f64 v[212:213], v[246:247], v[74:75]
	v_mul_f64 v[214:215], v[246:247], v[72:73]
	v_fma_f64 v[246:247], v[222:223], v[94:95], -v[118:119]
	s_waitcnt vmcnt(8) lgkmcnt(4)
	v_mul_f64 v[218:219], v[18:19], v[58:59]
	v_mul_f64 v[220:221], v[18:19], v[56:57]
	v_fma_f64 v[18:19], v[222:223], v[92:93], v[116:117]
	s_waitcnt vmcnt(4) lgkmcnt(3)
	v_mul_f64 v[222:223], v[8:9], v[70:71]
	v_mul_f64 v[224:225], v[8:9], v[68:69]
	s_waitcnt vmcnt(0) lgkmcnt(2)
	v_mul_f64 v[226:227], v[4:5], v[78:79]
	v_mul_f64 v[204:205], v[4:5], v[76:77]
	v_fma_f64 v[4:5], v[206:207], v[88:89], v[146:147]
	v_fma_f64 v[8:9], v[206:207], v[90:91], -v[168:169]
	s_clause 0x7
	buffer_load_dword v88, off, s[40:43], 0 offset:1228
	buffer_load_dword v89, off, s[40:43], 0 offset:1232
	;; [unrolled: 1-line block ×8, first 2 shown]
	v_add_f64 v[116:117], v[122:123], v[184:185]
	v_add_f64 v[118:119], v[100:101], v[156:157]
	v_fma_f64 v[168:169], v[172:173], v[40:41], v[130:131]
	v_mul_f64 v[134:135], v[98:99], v[66:67]
	v_mul_f64 v[216:217], v[98:99], v[64:65]
	v_fma_f64 v[172:173], v[242:243], v[36:37], v[112:113]
	v_add_f64 v[36:37], v[138:139], -v[200:201]
	v_fma_f64 v[100:101], v[176:177], v[84:85], v[110:111]
	v_fma_f64 v[110:111], v[176:177], v[86:87], -v[128:129]
	v_fma_f64 v[176:177], v[238:239], v[44:45], v[136:137]
	v_fma_f64 v[86:87], v[0:1], v[50:51], -v[126:127]
	v_fma_f64 v[136:137], v[248:249], v[62:63], -v[210:211]
	v_add_f64 v[44:45], v[190:191], -v[196:197]
	v_mul_f64 v[62:63], v[38:39], s[4:5]
	v_fma_f64 v[126:127], v[6:7], v[68:69], v[222:223]
	v_fma_f64 v[130:131], v[6:7], v[70:71], -v[224:225]
	v_mul_f64 v[70:71], v[38:39], s[12:13]
	v_fma_f64 v[84:85], v[0:1], v[48:49], v[124:125]
	v_fma_f64 v[124:125], v[244:245], v[72:73], v[212:213]
	v_fma_f64 v[128:129], v[244:245], v[74:75], -v[214:215]
	v_fma_f64 v[138:139], v[2:3], v[78:79], -v[204:205]
	v_add_f64 v[48:49], v[188:189], v[194:195]
	v_add_f64 v[116:117], v[116:117], v[158:159]
	;; [unrolled: 1-line block ×3, first 2 shown]
	v_fma_f64 v[118:119], v[16:17], v[56:57], v[218:219]
	v_add_f64 v[50:51], v[188:189], -v[194:195]
	v_fma_f64 v[120:121], v[96:97], v[66:67], -v[216:217]
	v_mul_f64 v[66:67], v[38:39], s[6:7]
	v_mul_f64 v[52:53], v[36:37], s[16:17]
	;; [unrolled: 1-line block ×5, first 2 shown]
	v_add_f64 v[56:57], v[184:185], v[192:193]
	v_mul_f64 v[74:75], v[46:47], s[4:5]
	v_mul_f64 v[72:73], v[44:45], s[18:19]
	;; [unrolled: 1-line block ×3, first 2 shown]
	v_add_f64 v[98:99], v[240:241], v[110:111]
	s_waitcnt vmcnt(0) lgkmcnt(0)
	s_waitcnt_vscnt null, 0x0
	s_barrier
	buffer_gl0_inv
	v_add_f64 v[236:237], v[116:117], v[152:153]
	v_add_f64 v[40:41], v[122:123], v[150:151]
	v_fma_f64 v[116:117], v[96:97], v[64:65], v[134:135]
	v_mul_f64 v[64:65], v[36:37], s[20:21]
	v_mul_f64 v[36:37], v[36:37], s[24:25]
	v_fma_f64 v[122:123], v[16:17], v[58:59], -v[220:221]
	v_fma_f64 v[134:135], v[2:3], v[76:77], v[226:227]
	v_add_f64 v[58:59], v[184:185], -v[192:193]
	v_mul_f64 v[76:77], v[44:45], s[22:23]
	v_mul_f64 v[184:185], v[44:45], s[28:29]
	v_add_f64 v[96:97], v[10:11], -v[100:101]
	v_add_f64 v[42:43], v[236:237], v[154:155]
	v_add_f64 v[40:41], v[40:41], v[162:163]
	v_fma_f64 v[216:217], v[48:49], s[12:13], v[76:77]
	v_add_f64 v[42:43], v[42:43], v[166:167]
	v_add_f64 v[40:41], v[40:41], v[182:183]
	;; [unrolled: 1-line block ×5, first 2 shown]
	v_mul_f64 v[146:147], v[90:91], v[82:83]
	v_mul_f64 v[232:233], v[94:95], v[34:35]
	v_mul_f64 v[234:235], v[94:95], v[32:33]
	v_mul_f64 v[206:207], v[90:91], v[80:81]
	v_add_f64 v[90:91], v[246:247], v[8:9]
	v_fma_f64 v[142:143], v[88:89], v[80:81], v[146:147]
	v_fma_f64 v[112:113], v[92:93], v[32:33], v[232:233]
	v_fma_f64 v[114:115], v[92:93], v[34:35], -v[234:235]
	v_add_f64 v[32:33], v[186:187], v[198:199]
	v_add_f64 v[34:35], v[186:187], -v[198:199]
	v_fma_f64 v[146:147], v[88:89], v[82:83], -v[206:207]
	v_mul_f64 v[80:81], v[44:45], s[30:31]
	v_mul_f64 v[82:83], v[46:47], s[14:15]
	;; [unrolled: 1-line block ×3, first 2 shown]
	v_add_f64 v[92:93], v[18:19], -v[4:5]
	v_fma_f64 v[188:189], v[32:33], s[0:1], v[52:53]
	v_fma_f64 v[190:191], v[34:35], s[26:27], v[54:55]
	v_fma_f64 v[52:53], v[32:33], s[0:1], -v[52:53]
	v_fma_f64 v[54:55], v[34:35], s[16:17], v[54:55]
	v_fma_f64 v[202:203], v[32:33], s[4:5], v[60:61]
	v_fma_f64 v[192:193], v[34:35], s[34:35], v[62:63]
	v_fma_f64 v[60:61], v[32:33], s[4:5], -v[60:61]
	v_fma_f64 v[62:63], v[34:35], s[18:19], v[62:63]
	v_fma_f64 v[204:205], v[32:33], s[6:7], v[64:65]
	v_fma_f64 v[206:207], v[34:35], s[28:29], v[66:67]
	v_fma_f64 v[64:65], v[32:33], s[6:7], -v[64:65]
	v_fma_f64 v[66:67], v[34:35], s[20:21], v[66:67]
	v_fma_f64 v[208:209], v[32:33], s[12:13], v[68:69]
	v_fma_f64 v[210:211], v[34:35], s[36:37], v[70:71]
	v_fma_f64 v[68:69], v[32:33], s[12:13], -v[68:69]
	v_fma_f64 v[70:71], v[34:35], s[22:23], v[70:71]
	v_fma_f64 v[212:213], v[32:33], s[14:15], v[36:37]
	v_fma_f64 v[214:215], v[34:35], s[30:31], v[38:39]
	v_fma_f64 v[32:33], v[32:33], s[14:15], -v[36:37]
	v_fma_f64 v[34:35], v[34:35], s[24:25], v[38:39]
	v_fma_f64 v[36:37], v[48:49], s[4:5], v[72:73]
	v_fma_f64 v[38:39], v[50:51], s[34:35], v[74:75]
	v_fma_f64 v[72:73], v[48:49], s[4:5], -v[72:73]
	v_add_f64 v[188:189], v[28:29], v[188:189]
	v_add_f64 v[190:191], v[30:31], v[190:191]
	;; [unrolled: 1-line block ×22, first 2 shown]
	v_fma_f64 v[40:41], v[50:51], s[36:37], v[78:79]
	v_mul_f64 v[42:43], v[44:45], s[26:27]
	v_mul_f64 v[44:45], v[46:47], s[0:1]
	v_fma_f64 v[46:47], v[48:49], s[12:13], -v[76:77]
	v_fma_f64 v[76:77], v[50:51], s[22:23], v[78:79]
	v_fma_f64 v[78:79], v[48:49], s[14:15], v[80:81]
	;; [unrolled: 1-line block ×3, first 2 shown]
	v_fma_f64 v[80:81], v[48:49], s[14:15], -v[80:81]
	v_fma_f64 v[82:83], v[50:51], s[30:31], v[82:83]
	v_add_f64 v[200:201], v[180:181], v[182:183]
	v_add_f64 v[180:181], v[180:181], -v[182:183]
	v_mul_f64 v[212:213], v[56:57], s[6:7]
	v_fma_f64 v[74:75], v[50:51], s[18:19], v[74:75]
	v_mul_f64 v[182:183], v[58:59], s[20:21]
	v_add_f64 v[36:37], v[36:37], v[188:189]
	v_add_f64 v[38:39], v[38:39], v[190:191]
	;; [unrolled: 1-line block ×3, first 2 shown]
	v_fma_f64 v[72:73], v[48:49], s[6:7], v[184:185]
	v_fma_f64 v[184:185], v[48:49], s[6:7], -v[184:185]
	v_add_f64 v[188:189], v[216:217], v[194:195]
	v_add_f64 v[194:195], v[26:27], v[164:165]
	;; [unrolled: 1-line block ×3, first 2 shown]
	v_fma_f64 v[190:191], v[48:49], s[0:1], v[42:43]
	v_fma_f64 v[192:193], v[50:51], s[16:17], v[44:45]
	v_fma_f64 v[42:43], v[48:49], s[0:1], -v[42:43]
	v_fma_f64 v[44:45], v[50:51], s[26:27], v[44:45]
	v_add_f64 v[48:49], v[76:77], v[62:63]
	v_add_f64 v[46:47], v[46:47], v[60:61]
	;; [unrolled: 1-line block ×4, first 2 shown]
	v_mul_f64 v[80:81], v[56:57], s[14:15]
	v_add_f64 v[82:83], v[24:25], v[160:161]
	v_fma_f64 v[76:77], v[180:181], s[28:29], v[212:213]
	v_add_f64 v[54:55], v[74:75], v[54:55]
	v_fma_f64 v[74:75], v[50:51], s[20:21], v[186:187]
	v_fma_f64 v[186:187], v[50:51], s[28:29], v[186:187]
	v_add_f64 v[50:51], v[78:79], v[196:197]
	v_fma_f64 v[66:67], v[200:201], s[6:7], v[182:183]
	v_mul_f64 v[78:79], v[58:59], s[30:31]
	v_add_f64 v[72:73], v[72:73], v[204:205]
	v_add_f64 v[68:69], v[184:185], v[68:69]
	;; [unrolled: 1-line block ×3, first 2 shown]
	v_mul_f64 v[184:185], v[58:59], s[34:35]
	v_mul_f64 v[196:197], v[56:57], s[0:1]
	v_add_f64 v[204:205], v[156:157], v[162:163]
	v_add_f64 v[156:157], v[156:157], -v[162:163]
	v_add_f64 v[32:33], v[42:43], v[32:33]
	v_add_f64 v[34:35], v[44:45], v[34:35]
	v_add_f64 v[42:43], v[158:159], -v[166:167]
	v_add_f64 v[44:45], v[158:159], v[166:167]
	v_fma_f64 v[158:159], v[200:201], s[6:7], -v[182:183]
	v_mul_f64 v[182:183], v[58:59], s[16:17]
	v_fma_f64 v[166:167], v[180:181], s[20:21], v[212:213]
	v_add_f64 v[82:83], v[82:83], v[108:109]
	v_add_f64 v[38:39], v[76:77], v[38:39]
	v_fma_f64 v[76:77], v[180:181], s[24:25], v[80:81]
	v_mul_f64 v[58:59], v[58:59], s[22:23]
	v_add_f64 v[70:71], v[186:187], v[70:71]
	v_mul_f64 v[186:187], v[56:57], s[4:5]
	v_add_f64 v[36:37], v[66:67], v[36:37]
	v_fma_f64 v[66:67], v[200:201], s[14:15], v[78:79]
	v_mul_f64 v[56:57], v[56:57], s[12:13]
	v_fma_f64 v[78:79], v[200:201], s[14:15], -v[78:79]
	v_add_f64 v[60:61], v[198:199], v[202:203]
	v_add_f64 v[74:75], v[74:75], v[206:207]
	;; [unrolled: 1-line block ×3, first 2 shown]
	v_fma_f64 v[80:81], v[180:181], s[30:31], v[80:81]
	v_fma_f64 v[198:199], v[200:201], s[4:5], v[184:185]
	v_fma_f64 v[184:185], v[200:201], s[4:5], -v[184:185]
	v_add_f64 v[192:193], v[192:193], v[210:211]
	v_mul_f64 v[162:163], v[42:43], s[22:23]
	v_mul_f64 v[206:207], v[44:45], s[12:13]
	v_add_f64 v[52:53], v[158:159], v[52:53]
	v_fma_f64 v[158:159], v[200:201], s[0:1], v[182:183]
	v_add_f64 v[54:55], v[166:167], v[54:55]
	v_fma_f64 v[166:167], v[180:181], s[26:27], v[196:197]
	v_fma_f64 v[182:183], v[200:201], s[0:1], -v[182:183]
	v_add_f64 v[40:41], v[76:77], v[40:41]
	v_add_f64 v[76:77], v[82:83], v[104:105]
	;; [unrolled: 1-line block ×3, first 2 shown]
	v_fma_f64 v[202:203], v[180:181], s[18:19], v[186:187]
	v_fma_f64 v[186:187], v[180:181], s[34:35], v[186:187]
	;; [unrolled: 1-line block ×3, first 2 shown]
	v_add_f64 v[66:67], v[66:67], v[188:189]
	v_fma_f64 v[188:189], v[200:201], s[12:13], v[58:59]
	v_fma_f64 v[194:195], v[180:181], s[36:37], v[56:57]
	v_add_f64 v[46:47], v[78:79], v[46:47]
	v_fma_f64 v[56:57], v[180:181], s[22:23], v[56:57]
	v_mul_f64 v[180:181], v[42:43], s[28:29]
	v_add_f64 v[48:49], v[80:81], v[48:49]
	v_fma_f64 v[58:59], v[200:201], s[12:13], -v[58:59]
	v_add_f64 v[50:51], v[198:199], v[50:51]
	v_fma_f64 v[78:79], v[204:205], s[12:13], v[162:163]
	v_add_f64 v[62:63], v[184:185], v[62:63]
	v_fma_f64 v[80:81], v[156:157], s[36:37], v[206:207]
	v_add_f64 v[72:73], v[158:159], v[72:73]
	v_mul_f64 v[158:159], v[42:43], s[16:17]
	v_mul_f64 v[184:185], v[44:45], s[6:7]
	v_add_f64 v[74:75], v[166:167], v[74:75]
	v_add_f64 v[68:69], v[182:183], v[68:69]
	;; [unrolled: 1-line block ×4, first 2 shown]
	v_mul_f64 v[166:167], v[44:45], s[0:1]
	v_add_f64 v[64:65], v[186:187], v[64:65]
	v_add_f64 v[70:71], v[196:197], v[70:71]
	v_add_f64 v[60:61], v[202:203], v[60:61]
	v_add_f64 v[182:183], v[188:189], v[190:191]
	v_add_f64 v[188:189], v[152:153], -v[154:155]
	v_add_f64 v[152:153], v[152:153], v[154:155]
	v_add_f64 v[186:187], v[194:195], v[192:193]
	;; [unrolled: 1-line block ×3, first 2 shown]
	v_fma_f64 v[56:57], v[204:205], s[12:13], -v[162:163]
	v_add_f64 v[32:33], v[58:59], v[32:33]
	v_fma_f64 v[58:59], v[156:157], s[22:23], v[206:207]
	v_add_f64 v[36:37], v[78:79], v[36:37]
	v_fma_f64 v[78:79], v[204:205], s[6:7], v[180:181]
	v_fma_f64 v[180:181], v[204:205], s[6:7], -v[180:181]
	v_mul_f64 v[154:155], v[42:43], s[24:25]
	v_fma_f64 v[190:191], v[204:205], s[0:1], v[158:159]
	v_mul_f64 v[162:163], v[44:45], s[14:15]
	v_add_f64 v[38:39], v[80:81], v[38:39]
	v_fma_f64 v[80:81], v[156:157], s[20:21], v[184:185]
	v_add_f64 v[76:77], v[76:77], v[18:19]
	v_add_f64 v[82:83], v[82:83], v[246:247]
	v_fma_f64 v[184:185], v[156:157], s[28:29], v[184:185]
	v_mul_f64 v[42:43], v[42:43], s[34:35]
	v_mul_f64 v[44:45], v[44:45], s[4:5]
	v_fma_f64 v[192:193], v[156:157], s[26:27], v[166:167]
	v_add_f64 v[194:195], v[148:149], v[150:151]
	v_add_f64 v[148:149], v[148:149], -v[150:151]
	v_mul_f64 v[150:151], v[188:189], s[24:25]
	v_mul_f64 v[196:197], v[152:153], s[14:15]
	v_fma_f64 v[158:159], v[204:205], s[0:1], -v[158:159]
	v_fma_f64 v[166:167], v[156:157], s[16:17], v[166:167]
	v_add_f64 v[52:53], v[56:57], v[52:53]
	v_add_f64 v[54:55], v[58:59], v[54:55]
	;; [unrolled: 1-line block ×5, first 2 shown]
	v_fma_f64 v[56:57], v[204:205], s[14:15], v[154:155]
	v_add_f64 v[180:181], v[190:191], v[50:51]
	v_fma_f64 v[58:59], v[156:157], s[30:31], v[162:163]
	v_fma_f64 v[154:155], v[204:205], s[14:15], -v[154:155]
	v_fma_f64 v[162:163], v[156:157], s[24:25], v[162:163]
	v_add_f64 v[50:51], v[76:77], v[4:5]
	v_add_f64 v[76:77], v[82:83], v[8:9]
	;; [unrolled: 1-line block ×4, first 2 shown]
	v_fma_f64 v[48:49], v[204:205], s[4:5], v[42:43]
	v_fma_f64 v[80:81], v[156:157], s[18:19], v[44:45]
	v_fma_f64 v[42:43], v[204:205], s[4:5], -v[42:43]
	v_fma_f64 v[44:45], v[156:157], s[34:35], v[44:45]
	v_fma_f64 v[82:83], v[194:195], s[14:15], v[150:151]
	;; [unrolled: 1-line block ×3, first 2 shown]
	v_add_f64 v[62:63], v[158:159], v[62:63]
	v_add_f64 v[64:65], v[166:167], v[64:65]
	v_mul_f64 v[158:159], v[188:189], s[26:27]
	v_mul_f64 v[166:167], v[152:153], s[0:1]
	v_fma_f64 v[150:151], v[194:195], s[14:15], -v[150:151]
	v_add_f64 v[60:61], v[192:193], v[60:61]
	v_add_f64 v[160:161], v[160:161], -v[176:177]
	v_add_f64 v[72:73], v[56:57], v[72:73]
	v_mul_f64 v[56:57], v[188:189], s[22:23]
	v_add_f64 v[74:75], v[58:59], v[74:75]
	v_add_f64 v[68:69], v[154:155], v[68:69]
	;; [unrolled: 1-line block ×3, first 2 shown]
	v_mul_f64 v[58:59], v[152:153], s[12:13]
	v_add_f64 v[76:77], v[76:77], v[110:111]
	v_fma_f64 v[154:155], v[148:149], s[24:25], v[196:197]
	v_add_f64 v[50:51], v[50:51], v[100:101]
	v_add_f64 v[162:163], v[48:49], v[182:183]
	;; [unrolled: 1-line block ×3, first 2 shown]
	v_mul_f64 v[48:49], v[188:189], s[34:35]
	v_mul_f64 v[182:183], v[152:153], s[4:5]
	v_add_f64 v[184:185], v[42:43], v[32:33]
	v_add_f64 v[186:187], v[44:45], v[34:35]
	;; [unrolled: 1-line block ×4, first 2 shown]
	v_add_f64 v[82:83], v[164:165], -v[178:179]
	v_add_f64 v[156:157], v[164:165], v[178:179]
	v_fma_f64 v[42:43], v[194:195], s[0:1], v[158:159]
	v_fma_f64 v[44:45], v[148:149], s[16:17], v[166:167]
	v_mul_f64 v[164:165], v[188:189], s[20:21]
	v_mul_f64 v[152:153], v[152:153], s[6:7]
	v_fma_f64 v[158:159], v[194:195], s[0:1], -v[158:159]
	v_fma_f64 v[166:167], v[148:149], s[26:27], v[166:167]
	v_fma_f64 v[188:189], v[194:195], s[12:13], v[56:57]
	v_add_f64 v[32:33], v[150:151], v[52:53]
	v_fma_f64 v[190:191], v[148:149], s[36:37], v[58:59]
	v_add_f64 v[76:77], v[76:77], v[170:171]
	v_add_f64 v[34:35], v[154:155], v[54:55]
	v_fma_f64 v[52:53], v[194:195], s[12:13], -v[56:57]
	v_fma_f64 v[54:55], v[148:149], s[22:23], v[58:59]
	v_add_f64 v[192:193], v[50:51], v[168:169]
	v_fma_f64 v[150:151], v[194:195], s[4:5], v[48:49]
	v_fma_f64 v[154:155], v[148:149], s[18:19], v[182:183]
	v_fma_f64 v[196:197], v[194:195], s[4:5], -v[48:49]
	v_fma_f64 v[182:183], v[148:149], s[34:35], v[182:183]
	v_add_f64 v[212:213], v[104:105], v[168:169]
	v_add_f64 v[104:105], v[104:105], -v[168:169]
	v_mul_f64 v[200:201], v[82:83], s[16:17]
	v_mul_f64 v[202:203], v[156:157], s[0:1]
	v_add_f64 v[48:49], v[42:43], v[66:67]
	v_add_f64 v[50:51], v[44:45], v[40:41]
	v_fma_f64 v[66:67], v[194:195], s[6:7], v[164:165]
	v_fma_f64 v[204:205], v[148:149], s[28:29], v[152:153]
	v_add_f64 v[40:41], v[158:159], v[46:47]
	v_add_f64 v[42:43], v[166:167], v[78:79]
	v_mul_f64 v[78:79], v[82:83], s[18:19]
	v_mul_f64 v[158:159], v[156:157], s[4:5]
	v_fma_f64 v[164:165], v[194:195], s[6:7], -v[164:165]
	v_fma_f64 v[148:149], v[148:149], s[20:21], v[152:153]
	v_add_f64 v[76:77], v[76:77], v[174:175]
	v_mul_f64 v[166:167], v[156:157], s[6:7]
	v_add_f64 v[56:57], v[188:189], v[180:181]
	v_add_f64 v[58:59], v[190:191], v[60:61]
	;; [unrolled: 1-line block ×9, first 2 shown]
	v_mul_f64 v[154:155], v[82:83], s[20:21]
	v_mul_f64 v[180:181], v[82:83], s[22:23]
	;; [unrolled: 1-line block ×3, first 2 shown]
	v_add_f64 v[68:69], v[66:67], v[162:163]
	v_mul_f64 v[82:83], v[82:83], s[24:25]
	v_fma_f64 v[150:151], v[198:199], s[0:1], v[200:201]
	v_fma_f64 v[152:153], v[160:161], s[26:27], v[202:203]
	;; [unrolled: 1-line block ×4, first 2 shown]
	v_add_f64 v[72:73], v[164:165], v[184:185]
	v_add_f64 v[74:75], v[148:149], v[186:187]
	v_mul_f64 v[148:149], v[156:157], s[14:15]
	v_add_f64 v[66:67], v[76:77], v[178:179]
	v_add_f64 v[76:77], v[106:107], -v[174:175]
	v_add_f64 v[106:107], v[106:107], v[174:175]
	v_fma_f64 v[164:165], v[160:161], s[28:29], v[166:167]
	v_fma_f64 v[166:167], v[160:161], s[20:21], v[166:167]
	v_add_f64 v[70:71], v[204:205], v[80:81]
	v_fma_f64 v[80:81], v[198:199], s[0:1], -v[200:201]
	v_fma_f64 v[162:163], v[160:161], s[16:17], v[202:203]
	v_add_f64 v[64:65], v[64:65], v[176:177]
	v_fma_f64 v[78:79], v[198:199], s[4:5], -v[78:79]
	v_fma_f64 v[156:157], v[160:161], s[18:19], v[158:159]
	v_fma_f64 v[158:159], v[198:199], s[6:7], v[154:155]
	v_fma_f64 v[154:155], v[198:199], s[6:7], -v[154:155]
	v_fma_f64 v[174:175], v[198:199], s[12:13], v[180:181]
	v_fma_f64 v[176:177], v[160:161], s[36:37], v[182:183]
	v_fma_f64 v[180:181], v[198:199], s[12:13], -v[180:181]
	v_fma_f64 v[182:183], v[160:161], s[22:23], v[182:183]
	v_add_f64 v[178:179], v[24:25], v[188:189]
	v_add_f64 v[184:185], v[26:27], v[190:191]
	v_fma_f64 v[186:187], v[198:199], s[14:15], v[82:83]
	v_add_f64 v[190:191], v[108:109], v[172:173]
	v_fma_f64 v[188:189], v[160:161], s[30:31], v[148:149]
	v_add_f64 v[108:109], v[108:109], -v[172:173]
	v_mul_f64 v[172:173], v[76:77], s[18:19]
	v_mul_f64 v[192:193], v[106:107], s[4:5]
	v_fma_f64 v[82:83], v[198:199], s[14:15], -v[82:83]
	v_fma_f64 v[148:149], v[160:161], s[24:25], v[148:149]
	v_add_f64 v[160:161], v[26:27], v[164:165]
	v_add_f64 v[164:165], v[26:27], v[166:167]
	v_mul_f64 v[166:167], v[76:77], s[22:23]
	v_add_f64 v[200:201], v[102:103], -v[170:171]
	v_add_f64 v[102:103], v[102:103], v[170:171]
	v_add_f64 v[150:151], v[24:25], v[150:151]
	v_add_f64 v[152:153], v[26:27], v[152:153]
	v_add_f64 v[80:81], v[24:25], v[80:81]
	v_add_f64 v[162:163], v[26:27], v[162:163]
	v_add_f64 v[78:79], v[24:25], v[78:79]
	v_add_f64 v[156:157], v[26:27], v[156:157]
	v_add_f64 v[158:159], v[24:25], v[158:159]
	v_add_f64 v[154:155], v[24:25], v[154:155]
	v_mul_f64 v[194:195], v[106:107], s[12:13]
	v_add_f64 v[174:175], v[24:25], v[174:175]
	v_add_f64 v[176:177], v[26:27], v[176:177]
	v_mul_f64 v[196:197], v[76:77], s[30:31]
	v_mul_f64 v[198:199], v[106:107], s[14:15]
	v_add_f64 v[180:181], v[24:25], v[180:181]
	v_add_f64 v[182:183], v[26:27], v[182:183]
	;; [unrolled: 1-line block ×4, first 2 shown]
	v_fma_f64 v[188:189], v[190:191], s[4:5], v[172:173]
	v_fma_f64 v[202:203], v[108:109], s[34:35], v[192:193]
	v_mul_f64 v[204:205], v[76:77], s[28:29]
	v_mul_f64 v[206:207], v[106:107], s[6:7]
	v_add_f64 v[24:25], v[24:25], v[82:83]
	v_add_f64 v[26:27], v[26:27], v[148:149]
	v_fma_f64 v[82:83], v[190:191], s[4:5], -v[172:173]
	v_fma_f64 v[148:149], v[108:109], s[18:19], v[192:193]
	v_mul_f64 v[76:77], v[76:77], s[26:27]
	v_mul_f64 v[106:107], v[106:107], s[0:1]
	v_fma_f64 v[172:173], v[190:191], s[12:13], v[166:167]
	v_fma_f64 v[166:167], v[190:191], s[12:13], -v[166:167]
	v_mul_f64 v[168:169], v[200:201], s[20:21]
	v_mul_f64 v[214:215], v[102:103], s[6:7]
	v_fma_f64 v[192:193], v[108:109], s[36:37], v[194:195]
	v_fma_f64 v[194:195], v[108:109], s[22:23], v[194:195]
	;; [unrolled: 1-line block ×5, first 2 shown]
	v_fma_f64 v[196:197], v[190:191], s[14:15], -v[196:197]
	v_add_f64 v[150:151], v[188:189], v[150:151]
	v_add_f64 v[152:153], v[202:203], v[152:153]
	v_fma_f64 v[188:189], v[190:191], s[6:7], v[204:205]
	v_fma_f64 v[202:203], v[108:109], s[20:21], v[206:207]
	;; [unrolled: 1-line block ×3, first 2 shown]
	v_fma_f64 v[204:205], v[190:191], s[6:7], -v[204:205]
	v_add_f64 v[80:81], v[82:83], v[80:81]
	v_add_f64 v[82:83], v[148:149], v[162:163]
	v_fma_f64 v[148:149], v[190:191], s[0:1], v[76:77]
	v_fma_f64 v[162:163], v[108:109], s[16:17], v[106:107]
	v_fma_f64 v[76:77], v[190:191], s[0:1], -v[76:77]
	v_fma_f64 v[106:107], v[108:109], s[26:27], v[106:107]
	v_add_f64 v[108:109], v[172:173], v[178:179]
	v_add_f64 v[78:79], v[166:167], v[78:79]
	v_fma_f64 v[166:167], v[212:213], s[6:7], v[168:169]
	v_fma_f64 v[178:179], v[104:105], s[28:29], v[214:215]
	v_add_f64 v[172:173], v[192:193], v[184:185]
	v_mul_f64 v[184:185], v[200:201], s[30:31]
	v_mul_f64 v[190:191], v[102:103], s[14:15]
	;; [unrolled: 1-line block ×3, first 2 shown]
	v_add_f64 v[156:157], v[194:195], v[156:157]
	v_add_f64 v[154:155], v[196:197], v[154:155]
	;; [unrolled: 1-line block ×3, first 2 shown]
	v_mul_f64 v[196:197], v[200:201], s[22:23]
	v_add_f64 v[174:175], v[188:189], v[174:175]
	v_mul_f64 v[188:189], v[200:201], s[34:35]
	v_add_f64 v[176:177], v[202:203], v[176:177]
	v_add_f64 v[180:181], v[204:205], v[180:181]
	v_add_f64 v[182:183], v[206:207], v[182:183]
	v_add_f64 v[202:203], v[10:11], v[100:101]
	v_add_f64 v[148:149], v[148:149], v[170:171]
	v_mul_f64 v[170:171], v[102:103], s[0:1]
	v_add_f64 v[24:25], v[76:77], v[24:25]
	v_add_f64 v[26:27], v[106:107], v[26:27]
	v_add_f64 v[76:77], v[240:241], -v[110:111]
	v_fma_f64 v[106:107], v[212:213], s[6:7], -v[168:169]
	v_fma_f64 v[110:111], v[104:105], s[20:21], v[214:215]
	v_mul_f64 v[168:169], v[200:201], s[16:17]
	v_add_f64 v[150:151], v[166:167], v[150:151]
	v_add_f64 v[152:153], v[178:179], v[152:153]
	;; [unrolled: 1-line block ×5, first 2 shown]
	v_fma_f64 v[186:187], v[212:213], s[14:15], v[184:185]
	v_fma_f64 v[194:195], v[104:105], s[24:25], v[190:191]
	v_fma_f64 v[184:185], v[212:213], s[14:15], -v[184:185]
	v_fma_f64 v[190:191], v[104:105], s[30:31], v[190:191]
	v_mul_f64 v[102:103], v[102:103], s[12:13]
	v_fma_f64 v[198:199], v[212:213], s[4:5], v[188:189]
	v_fma_f64 v[200:201], v[104:105], s[18:19], v[192:193]
	v_fma_f64 v[188:189], v[212:213], s[4:5], -v[188:189]
	v_fma_f64 v[192:193], v[104:105], s[34:35], v[192:193]
	v_mul_f64 v[204:205], v[98:99], s[12:13]
	v_add_f64 v[158:159], v[208:209], v[158:159]
	v_add_f64 v[160:161], v[210:211], v[160:161]
	v_add_f64 v[208:209], v[136:137], -v[138:139]
	v_mul_f64 v[100:101], v[76:77], s[22:23]
	v_add_f64 v[80:81], v[106:107], v[80:81]
	v_add_f64 v[82:83], v[110:111], v[82:83]
	v_fma_f64 v[106:107], v[212:213], s[0:1], v[168:169]
	v_fma_f64 v[110:111], v[104:105], s[26:27], v[170:171]
	v_fma_f64 v[168:169], v[212:213], s[0:1], -v[168:169]
	v_fma_f64 v[170:171], v[104:105], s[16:17], v[170:171]
	v_add_f64 v[166:167], v[166:167], v[140:141]
	v_add_f64 v[178:179], v[178:179], v[144:145]
	;; [unrolled: 1-line block ×6, first 2 shown]
	v_fma_f64 v[184:185], v[212:213], s[12:13], v[196:197]
	v_fma_f64 v[186:187], v[104:105], s[36:37], v[102:103]
	v_fma_f64 v[190:191], v[212:213], s[12:13], -v[196:197]
	v_fma_f64 v[102:103], v[104:105], s[22:23], v[102:103]
	v_add_f64 v[104:105], v[188:189], v[154:155]
	v_add_f64 v[154:155], v[192:193], v[164:165]
	v_fma_f64 v[188:189], v[96:97], s[36:37], v[204:205]
	v_mul_f64 v[192:193], v[76:77], s[28:29]
	v_mul_f64 v[194:195], v[98:99], s[6:7]
	v_fma_f64 v[164:165], v[202:203], s[12:13], v[100:101]
	v_fma_f64 v[100:101], v[202:203], s[12:13], -v[100:101]
	v_add_f64 v[158:159], v[198:199], v[158:159]
	v_add_f64 v[106:107], v[106:107], v[174:175]
	;; [unrolled: 1-line block ×7, first 2 shown]
	v_fma_f64 v[176:177], v[96:97], s[22:23], v[204:205]
	v_mul_f64 v[178:179], v[76:77], s[16:17]
	v_mul_f64 v[180:181], v[98:99], s[0:1]
	v_add_f64 v[182:183], v[246:247], -v[8:9]
	v_add_f64 v[160:161], v[200:201], v[160:161]
	v_add_f64 v[148:149], v[184:185], v[148:149]
	;; [unrolled: 1-line block ×5, first 2 shown]
	v_mul_f64 v[94:95], v[76:77], s[24:25]
	v_mul_f64 v[102:103], v[98:99], s[14:15]
	v_add_f64 v[152:153], v[188:189], v[152:153]
	v_fma_f64 v[184:185], v[96:97], s[20:21], v[194:195]
	v_add_f64 v[150:151], v[164:165], v[150:151]
	v_fma_f64 v[164:165], v[202:203], s[6:7], v[192:193]
	v_fma_f64 v[186:187], v[202:203], s[6:7], -v[192:193]
	v_fma_f64 v[188:189], v[96:97], s[28:29], v[194:195]
	v_mul_f64 v[76:77], v[76:77], s[34:35]
	v_mul_f64 v[98:99], v[98:99], s[4:5]
	v_add_f64 v[80:81], v[100:101], v[80:81]
	v_add_f64 v[166:167], v[166:167], v[124:125]
	;; [unrolled: 1-line block ×4, first 2 shown]
	v_fma_f64 v[100:101], v[202:203], s[0:1], v[178:179]
	v_fma_f64 v[176:177], v[96:97], s[26:27], v[180:181]
	v_add_f64 v[190:191], v[18:19], v[4:5]
	v_mul_f64 v[88:89], v[182:183], s[24:25]
	v_mul_f64 v[192:193], v[90:91], s[14:15]
	v_fma_f64 v[178:179], v[202:203], s[0:1], -v[178:179]
	v_fma_f64 v[180:181], v[96:97], s[16:17], v[180:181]
	v_add_f64 v[136:137], v[136:137], v[138:139]
	v_fma_f64 v[194:195], v[202:203], s[14:15], v[94:95]
	v_fma_f64 v[196:197], v[96:97], s[30:31], v[102:103]
	v_fma_f64 v[94:95], v[202:203], s[14:15], -v[94:95]
	v_fma_f64 v[102:103], v[96:97], s[24:25], v[102:103]
	v_add_f64 v[108:109], v[164:165], v[108:109]
	v_add_f64 v[164:165], v[184:185], v[172:173]
	;; [unrolled: 1-line block ×4, first 2 shown]
	v_fma_f64 v[78:79], v[202:203], s[4:5], v[76:77]
	v_fma_f64 v[184:185], v[96:97], s[18:19], v[98:99]
	v_add_f64 v[166:167], v[166:167], v[116:117]
	v_add_f64 v[174:175], v[174:175], v[120:121]
	v_mul_f64 v[186:187], v[182:183], s[26:27]
	v_mul_f64 v[188:189], v[90:91], s[0:1]
	v_add_f64 v[100:101], v[100:101], v[158:159]
	v_add_f64 v[158:159], v[176:177], v[160:161]
	v_fma_f64 v[76:77], v[202:203], s[4:5], -v[76:77]
	v_fma_f64 v[96:97], v[96:97], s[34:35], v[98:99]
	v_fma_f64 v[98:99], v[190:191], s[14:15], v[88:89]
	;; [unrolled: 1-line block ×3, first 2 shown]
	v_add_f64 v[104:105], v[178:179], v[104:105]
	v_add_f64 v[154:155], v[180:181], v[154:155]
	;; [unrolled: 1-line block ×5, first 2 shown]
	v_mul_f64 v[102:103], v[182:183], s[22:23]
	v_mul_f64 v[170:171], v[90:91], s[12:13]
	v_fma_f64 v[88:89], v[190:191], s[14:15], -v[88:89]
	v_fma_f64 v[176:177], v[92:93], s[24:25], v[192:193]
	v_mul_f64 v[192:193], v[90:91], s[4:5]
	v_add_f64 v[148:149], v[78:79], v[148:149]
	v_add_f64 v[162:163], v[184:185], v[162:163]
	v_add_f64 v[166:167], v[166:167], v[118:119]
	v_add_f64 v[174:175], v[174:175], v[122:123]
	v_fma_f64 v[178:179], v[190:191], s[0:1], v[186:187]
	v_fma_f64 v[180:181], v[92:93], s[16:17], v[188:189]
	v_mul_f64 v[184:185], v[182:183], s[34:35]
	v_add_f64 v[110:111], v[196:197], v[110:111]
	v_add_f64 v[194:195], v[76:77], v[24:25]
	;; [unrolled: 1-line block ×5, first 2 shown]
	v_add_f64 v[150:151], v[86:87], -v[114:115]
	v_add_f64 v[152:153], v[86:87], v[114:115]
	v_mul_f64 v[86:87], v[182:183], s[20:21]
	v_fma_f64 v[98:99], v[92:93], s[26:27], v[188:189]
	v_mul_f64 v[160:161], v[90:91], s[6:7]
	v_fma_f64 v[96:97], v[190:191], s[0:1], -v[186:187]
	v_fma_f64 v[182:183], v[190:191], s[12:13], v[102:103]
	v_fma_f64 v[186:187], v[92:93], s[36:37], v[170:171]
	v_add_f64 v[24:25], v[88:89], v[80:81]
	v_add_f64 v[26:27], v[176:177], v[82:83]
	v_fma_f64 v[102:103], v[190:191], s[12:13], -v[102:103]
	v_fma_f64 v[170:171], v[92:93], s[22:23], v[170:171]
	v_add_f64 v[166:167], v[166:167], v[126:127]
	v_add_f64 v[174:175], v[174:175], v[130:131]
	;; [unrolled: 1-line block ×4, first 2 shown]
	v_fma_f64 v[108:109], v[190:191], s[4:5], v[184:185]
	v_fma_f64 v[164:165], v[92:93], s[18:19], v[192:193]
	v_fma_f64 v[176:177], v[190:191], s[4:5], -v[184:185]
	v_fma_f64 v[178:179], v[92:93], s[34:35], v[192:193]
	v_add_f64 v[180:181], v[84:85], v[112:113]
	v_add_f64 v[184:185], v[84:85], -v[112:113]
	v_mul_f64 v[188:189], v[150:151], s[16:17]
	v_mul_f64 v[192:193], v[152:153], s[0:1]
	v_fma_f64 v[198:199], v[190:191], s[6:7], v[86:87]
	v_add_f64 v[82:83], v[98:99], v[156:157]
	v_fma_f64 v[156:157], v[190:191], s[6:7], -v[86:87]
	v_fma_f64 v[200:201], v[92:93], s[28:29], v[160:161]
	v_add_f64 v[80:81], v[96:97], v[172:173]
	v_add_f64 v[96:97], v[182:183], v[100:101]
	;; [unrolled: 1-line block ×3, first 2 shown]
	v_fma_f64 v[158:159], v[92:93], s[20:21], v[160:161]
	v_add_f64 v[84:85], v[102:103], v[104:105]
	v_add_f64 v[86:87], v[170:171], v[154:155]
	v_add_f64 v[154:155], v[166:167], v[134:135]
	v_add_f64 v[160:161], v[174:175], v[138:139]
	v_mul_f64 v[166:167], v[150:151], s[18:19]
	v_mul_f64 v[170:171], v[152:153], s[4:5]
	v_add_f64 v[100:101], v[108:109], v[106:107]
	v_add_f64 v[102:103], v[164:165], v[110:111]
	;; [unrolled: 1-line block ×4, first 2 shown]
	v_mul_f64 v[164:165], v[150:151], s[20:21]
	v_mul_f64 v[168:169], v[152:153], s[6:7]
	;; [unrolled: 1-line block ×6, first 2 shown]
	v_add_f64 v[108:109], v[156:157], v[194:195]
	v_add_f64 v[156:157], v[144:145], -v[146:147]
	v_add_f64 v[144:145], v[144:145], v[146:147]
	v_fma_f64 v[172:173], v[180:181], s[0:1], v[188:189]
	v_fma_f64 v[174:175], v[184:185], s[26:27], v[192:193]
	v_add_f64 v[104:105], v[198:199], v[148:149]
	v_add_f64 v[106:107], v[200:201], v[162:163]
	v_fma_f64 v[148:149], v[180:181], s[0:1], -v[188:189]
	v_fma_f64 v[162:163], v[184:185], s[16:17], v[192:193]
	v_add_f64 v[110:111], v[158:159], v[196:197]
	v_add_f64 v[154:155], v[154:155], v[142:143]
	;; [unrolled: 1-line block ×3, first 2 shown]
	v_fma_f64 v[158:159], v[180:181], s[4:5], v[166:167]
	v_fma_f64 v[160:161], v[184:185], s[34:35], v[170:171]
	v_fma_f64 v[166:167], v[180:181], s[4:5], -v[166:167]
	v_fma_f64 v[170:171], v[184:185], s[18:19], v[170:171]
	v_fma_f64 v[182:183], v[180:181], s[6:7], v[164:165]
	;; [unrolled: 1-line block ×3, first 2 shown]
	v_fma_f64 v[164:165], v[180:181], s[6:7], -v[164:165]
	v_fma_f64 v[168:169], v[184:185], s[20:21], v[168:169]
	v_fma_f64 v[188:189], v[180:181], s[12:13], v[176:177]
	;; [unrolled: 1-line block ×3, first 2 shown]
	v_add_f64 v[192:193], v[140:141], v[142:143]
	v_add_f64 v[140:141], v[140:141], -v[142:143]
	v_mul_f64 v[142:143], v[156:157], s[18:19]
	v_mul_f64 v[194:195], v[144:145], s[4:5]
	v_fma_f64 v[176:177], v[180:181], s[12:13], -v[176:177]
	v_fma_f64 v[178:179], v[184:185], s[22:23], v[178:179]
	v_fma_f64 v[196:197], v[180:181], s[14:15], v[150:151]
	;; [unrolled: 1-line block ×3, first 2 shown]
	v_fma_f64 v[150:151], v[180:181], s[14:15], -v[150:151]
	v_fma_f64 v[152:153], v[184:185], s[24:25], v[152:153]
	v_mul_f64 v[180:181], v[156:157], s[22:23]
	v_mul_f64 v[200:201], v[156:157], s[30:31]
	v_add_f64 v[172:173], v[20:21], v[172:173]
	v_add_f64 v[174:175], v[22:23], v[174:175]
	;; [unrolled: 1-line block ×11, first 2 shown]
	v_mul_f64 v[184:185], v[144:145], s[12:13]
	v_add_f64 v[190:191], v[22:23], v[190:191]
	v_mul_f64 v[202:203], v[144:145], s[14:15]
	v_fma_f64 v[204:205], v[192:193], s[4:5], v[142:143]
	v_fma_f64 v[206:207], v[140:141], s[34:35], v[194:195]
	v_add_f64 v[178:179], v[22:23], v[178:179]
	v_add_f64 v[138:139], v[20:21], v[196:197]
	;; [unrolled: 1-line block ×3, first 2 shown]
	v_fma_f64 v[142:143], v[192:193], s[4:5], -v[142:143]
	v_fma_f64 v[194:195], v[140:141], s[18:19], v[194:195]
	v_mul_f64 v[198:199], v[156:157], s[28:29]
	v_mul_f64 v[210:211], v[144:145], s[6:7]
	v_add_f64 v[22:23], v[22:23], v[152:153]
	v_mul_f64 v[144:145], v[144:145], s[0:1]
	v_fma_f64 v[152:153], v[192:193], s[12:13], v[180:181]
	v_fma_f64 v[180:181], v[192:193], s[12:13], -v[180:181]
	v_fma_f64 v[212:213], v[192:193], s[14:15], v[200:201]
	v_add_f64 v[164:165], v[20:21], v[164:165]
	v_add_f64 v[188:189], v[20:21], v[188:189]
	;; [unrolled: 1-line block ×4, first 2 shown]
	v_mul_f64 v[150:151], v[156:157], s[26:27]
	v_fma_f64 v[156:157], v[140:141], s[36:37], v[184:185]
	v_fma_f64 v[184:185], v[140:141], s[22:23], v[184:185]
	;; [unrolled: 1-line block ×3, first 2 shown]
	v_add_f64 v[172:173], v[204:205], v[172:173]
	v_add_f64 v[174:175], v[206:207], v[174:175]
	;; [unrolled: 1-line block ×3, first 2 shown]
	v_add_f64 v[132:133], v[132:133], -v[134:135]
	v_mul_f64 v[134:135], v[208:209], s[20:21]
	v_mul_f64 v[206:207], v[136:137], s[6:7]
	v_fma_f64 v[200:201], v[192:193], s[14:15], -v[200:201]
	v_fma_f64 v[202:203], v[140:141], s[30:31], v[202:203]
	v_add_f64 v[142:143], v[142:143], v[148:149]
	v_add_f64 v[148:149], v[194:195], v[162:163]
	v_fma_f64 v[162:163], v[192:193], s[6:7], v[198:199]
	v_fma_f64 v[194:195], v[140:141], s[20:21], v[210:211]
	v_fma_f64 v[198:199], v[192:193], s[6:7], -v[198:199]
	v_fma_f64 v[218:219], v[140:141], s[16:17], v[144:145]
	v_add_f64 v[152:153], v[152:153], v[158:159]
	v_add_f64 v[158:159], v[180:181], v[166:167]
	;; [unrolled: 1-line block ×3, first 2 shown]
	v_mul_f64 v[180:181], v[208:209], s[30:31]
	v_mul_f64 v[182:183], v[136:137], s[14:15]
	v_fma_f64 v[210:211], v[140:141], s[28:29], v[210:211]
	v_fma_f64 v[216:217], v[192:193], s[0:1], v[150:151]
	v_add_f64 v[156:157], v[156:157], v[160:161]
	v_add_f64 v[160:161], v[184:185], v[170:171]
	;; [unrolled: 1-line block ×3, first 2 shown]
	v_fma_f64 v[150:151], v[192:193], s[0:1], -v[150:151]
	v_fma_f64 v[140:141], v[140:141], s[26:27], v[144:145]
	v_fma_f64 v[144:145], v[204:205], s[6:7], v[134:135]
	;; [unrolled: 1-line block ×3, first 2 shown]
	v_add_f64 v[164:165], v[200:201], v[164:165]
	v_add_f64 v[168:169], v[202:203], v[168:169]
	v_mul_f64 v[186:187], v[208:209], s[34:35]
	v_mul_f64 v[192:193], v[136:137], s[4:5]
	v_add_f64 v[162:163], v[162:163], v[188:189]
	v_add_f64 v[188:189], v[194:195], v[190:191]
	;; [unrolled: 1-line block ×4, first 2 shown]
	v_add_f64 v[194:195], v[128:129], -v[130:131]
	v_add_f64 v[128:129], v[128:129], v[130:131]
	v_mul_f64 v[130:131], v[208:209], s[16:17]
	v_mul_f64 v[196:197], v[136:137], s[0:1]
	v_fma_f64 v[134:135], v[204:205], s[6:7], -v[134:135]
	v_fma_f64 v[198:199], v[132:133], s[20:21], v[206:207]
	v_fma_f64 v[200:201], v[204:205], s[14:15], v[180:181]
	;; [unrolled: 1-line block ×3, first 2 shown]
	v_add_f64 v[178:179], v[210:211], v[178:179]
	v_mul_f64 v[136:137], v[136:137], s[12:13]
	v_add_f64 v[20:21], v[150:151], v[20:21]
	v_add_f64 v[22:23], v[140:141], v[22:23]
	;; [unrolled: 1-line block ×4, first 2 shown]
	v_fma_f64 v[150:151], v[204:205], s[14:15], -v[180:181]
	v_fma_f64 v[172:173], v[132:133], s[30:31], v[182:183]
	v_fma_f64 v[174:175], v[204:205], s[4:5], v[186:187]
	;; [unrolled: 1-line block ×3, first 2 shown]
	v_mul_f64 v[182:183], v[208:209], s[22:23]
	v_fma_f64 v[184:185], v[204:205], s[4:5], -v[186:187]
	v_fma_f64 v[186:187], v[132:133], s[34:35], v[192:193]
	v_add_f64 v[192:193], v[124:125], v[126:127]
	v_add_f64 v[124:125], v[124:125], -v[126:127]
	v_mul_f64 v[126:127], v[194:195], s[22:23]
	v_mul_f64 v[206:207], v[128:129], s[12:13]
	v_fma_f64 v[208:209], v[204:205], s[0:1], v[130:131]
	v_fma_f64 v[210:211], v[132:133], s[26:27], v[196:197]
	v_add_f64 v[134:135], v[134:135], v[142:143]
	v_add_f64 v[142:143], v[198:199], v[148:149]
	;; [unrolled: 1-line block ×4, first 2 shown]
	v_fma_f64 v[130:131], v[204:205], s[0:1], -v[130:131]
	v_fma_f64 v[156:157], v[132:133], s[16:17], v[196:197]
	v_mul_f64 v[196:197], v[194:195], s[28:29]
	v_mul_f64 v[198:199], v[128:129], s[6:7]
	v_add_f64 v[138:139], v[216:217], v[138:139]
	v_add_f64 v[150:151], v[150:151], v[158:159]
	;; [unrolled: 1-line block ×5, first 2 shown]
	v_fma_f64 v[170:171], v[204:205], s[12:13], v[182:183]
	v_fma_f64 v[172:173], v[132:133], s[36:37], v[136:137]
	v_add_f64 v[164:165], v[184:185], v[164:165]
	v_add_f64 v[168:169], v[186:187], v[168:169]
	v_fma_f64 v[174:175], v[204:205], s[12:13], -v[182:183]
	v_fma_f64 v[132:133], v[132:133], s[22:23], v[136:137]
	v_fma_f64 v[136:137], v[192:193], s[12:13], v[126:127]
	;; [unrolled: 1-line block ×3, first 2 shown]
	v_add_f64 v[182:183], v[210:211], v[188:189]
	v_mul_f64 v[184:185], v[194:195], s[16:17]
	v_mul_f64 v[186:187], v[128:129], s[0:1]
	v_fma_f64 v[126:127], v[192:193], s[12:13], -v[126:127]
	v_fma_f64 v[188:189], v[124:125], s[22:23], v[206:207]
	v_add_f64 v[130:131], v[130:131], v[176:177]
	v_add_f64 v[156:157], v[156:157], v[178:179]
	v_fma_f64 v[176:177], v[192:193], s[6:7], v[196:197]
	v_fma_f64 v[178:179], v[124:125], s[20:21], v[198:199]
	v_mul_f64 v[200:201], v[194:195], s[24:25]
	v_mul_f64 v[202:203], v[128:129], s[14:15]
	v_add_f64 v[162:163], v[208:209], v[162:163]
	v_mul_f64 v[128:129], v[128:129], s[4:5]
	v_fma_f64 v[196:197], v[192:193], s[6:7], -v[196:197]
	v_add_f64 v[138:139], v[170:171], v[138:139]
	v_add_f64 v[170:171], v[172:173], v[190:191]
	v_mul_f64 v[172:173], v[194:195], s[34:35]
	v_fma_f64 v[198:199], v[124:125], s[28:29], v[198:199]
	v_add_f64 v[20:21], v[174:175], v[20:21]
	v_add_f64 v[22:23], v[132:133], v[22:23]
	v_add_f64 v[132:133], v[136:137], v[140:141]
	v_add_f64 v[136:137], v[180:181], v[144:145]
	v_add_f64 v[140:141], v[120:121], -v[122:123]
	v_add_f64 v[120:121], v[120:121], v[122:123]
	v_fma_f64 v[122:123], v[192:193], s[0:1], v[184:185]
	v_fma_f64 v[144:145], v[124:125], s[26:27], v[186:187]
	v_add_f64 v[126:127], v[126:127], v[134:135]
	v_add_f64 v[134:135], v[188:189], v[142:143]
	v_fma_f64 v[142:143], v[192:193], s[0:1], -v[184:185]
	v_fma_f64 v[174:175], v[124:125], s[16:17], v[186:187]
	v_add_f64 v[148:149], v[176:177], v[148:149]
	v_add_f64 v[152:153], v[178:179], v[152:153]
	v_fma_f64 v[176:177], v[192:193], s[14:15], v[200:201]
	v_fma_f64 v[178:179], v[124:125], s[30:31], v[202:203]
	v_fma_f64 v[180:181], v[192:193], s[14:15], -v[200:201]
	v_fma_f64 v[184:185], v[124:125], s[24:25], v[202:203]
	v_fma_f64 v[188:189], v[124:125], s[18:19], v[128:129]
	;; [unrolled: 1-line block ×4, first 2 shown]
	v_fma_f64 v[172:173], v[192:193], s[4:5], -v[172:173]
	v_add_f64 v[128:129], v[116:117], v[118:119]
	v_add_f64 v[116:117], v[116:117], -v[118:119]
	v_add_f64 v[150:151], v[196:197], v[150:151]
	v_add_f64 v[158:159], v[198:199], v[158:159]
	v_mul_f64 v[118:119], v[140:141], s[24:25]
	v_mul_f64 v[190:191], v[120:121], s[14:15]
	v_add_f64 v[160:161], v[122:123], v[160:161]
	v_add_f64 v[144:145], v[144:145], v[166:167]
	v_mul_f64 v[122:123], v[140:141], s[26:27]
	v_mul_f64 v[166:167], v[120:121], s[0:1]
	;; [unrolled: 4-line block ×4, first 2 shown]
	v_add_f64 v[180:181], v[180:181], v[130:131]
	v_mul_f64 v[130:131], v[140:141], s[20:21]
	v_mul_f64 v[120:121], v[120:121], s[6:7]
	v_add_f64 v[156:157], v[184:185], v[156:157]
	v_add_f64 v[184:185], v[186:187], v[138:139]
	;; [unrolled: 1-line block ×5, first 2 shown]
	v_fma_f64 v[124:125], v[128:129], s[14:15], v[118:119]
	v_fma_f64 v[138:139], v[116:117], s[30:31], v[190:191]
	v_fma_f64 v[118:119], v[128:129], s[14:15], -v[118:119]
	v_fma_f64 v[140:141], v[116:117], s[24:25], v[190:191]
	v_fma_f64 v[188:189], v[128:129], s[0:1], v[122:123]
	v_fma_f64 v[190:191], v[116:117], s[16:17], v[166:167]
	v_fma_f64 v[192:193], v[128:129], s[0:1], -v[122:123]
	v_fma_f64 v[166:167], v[116:117], s[26:27], v[166:167]
	;; [unrolled: 4-line block ×5, first 2 shown]
	v_add_f64 v[20:21], v[154:155], v[112:113]
	v_add_f64 v[22:23], v[146:147], v[114:115]
	;; [unrolled: 1-line block ×22, first 2 shown]
	ds_write_b128 v228, v[28:31]
	ds_write_b128 v228, v[36:39] offset:112
	ds_write_b128 v228, v[48:51] offset:224
	ds_write_b128 v228, v[56:59] offset:336
	ds_write_b128 v228, v[60:63] offset:448
	ds_write_b128 v228, v[68:71] offset:560
	ds_write_b128 v228, v[72:75] offset:672
	ds_write_b128 v228, v[52:55] offset:784
	ds_write_b128 v228, v[44:47] offset:896
	ds_write_b128 v228, v[40:43] offset:1008
	ds_write_b128 v228, v[32:35] offset:1120
	ds_write_b128 v229, v[64:67]
	ds_write_b128 v229, v[76:79] offset:112
	ds_write_b128 v229, v[88:91] offset:224
	ds_write_b128 v229, v[96:99] offset:336
	ds_write_b128 v229, v[100:103] offset:448
	ds_write_b128 v229, v[104:107] offset:560
	ds_write_b128 v229, v[108:111] offset:672
	ds_write_b128 v229, v[92:95] offset:784
	ds_write_b128 v229, v[84:87] offset:896
	ds_write_b128 v229, v[80:83] offset:1008
	ds_write_b128 v229, v[24:27] offset:1120
	;; [unrolled: 11-line block ×3, first 2 shown]
	s_and_saveexec_b32 s33, vcc_lo
	s_cbranch_execz .LBB0_9
; %bb.8:
	s_clause 0xf
	buffer_load_dword v28, off, s[40:43], 0 offset:2300
	buffer_load_dword v29, off, s[40:43], 0 offset:2304
	;; [unrolled: 1-line block ×16, first 2 shown]
	s_waitcnt vmcnt(8)
	v_mul_f64 v[20:21], v[30:31], v[2:3]
	v_mul_f64 v[22:23], v[30:31], v[0:1]
	v_fma_f64 v[66:67], v[28:29], v[0:1], v[20:21]
	s_waitcnt vmcnt(0)
	v_mul_f64 v[20:21], v[26:27], v[6:7]
	v_fma_f64 v[74:75], v[28:29], v[2:3], -v[22:23]
	v_mul_f64 v[22:23], v[26:27], v[4:5]
	s_clause 0x7
	buffer_load_dword v28, off, s[40:43], 0 offset:2220
	buffer_load_dword v29, off, s[40:43], 0 offset:2224
	;; [unrolled: 1-line block ×8, first 2 shown]
	v_fma_f64 v[64:65], v[24:25], v[4:5], v[20:21]
	v_fma_f64 v[76:77], v[24:25], v[6:7], -v[22:23]
	s_clause 0x7
	buffer_load_dword v32, off, s[40:43], 0 offset:2252
	buffer_load_dword v33, off, s[40:43], 0 offset:2256
	;; [unrolled: 1-line block ×8, first 2 shown]
	v_add_f64 v[44:45], v[66:67], -v[64:65]
	v_add_f64 v[108:109], v[66:67], v[64:65]
	v_add_f64 v[52:53], v[74:75], v[76:77]
	v_add_f64 v[110:111], v[74:75], -v[76:77]
	v_mul_f64 v[20:21], v[44:45], s[20:21]
	v_fma_f64 v[22:23], v[52:53], s[6:7], v[20:21]
	v_fma_f64 v[20:21], v[52:53], s[6:7], -v[20:21]
	s_waitcnt vmcnt(8)
	v_mul_f64 v[24:25], v[30:31], v[2:3]
	v_mul_f64 v[26:27], v[30:31], v[0:1]
	v_fma_f64 v[68:69], v[28:29], v[0:1], v[24:25]
	s_waitcnt vmcnt(0)
	v_mul_f64 v[24:25], v[34:35], v[6:7]
	v_fma_f64 v[78:79], v[28:29], v[2:3], -v[26:27]
	v_mul_f64 v[26:27], v[34:35], v[4:5]
	v_fma_f64 v[62:63], v[32:33], v[4:5], v[24:25]
	v_fma_f64 v[80:81], v[32:33], v[6:7], -v[26:27]
	s_clause 0xf
	buffer_load_dword v32, off, s[40:43], 0 offset:2204
	buffer_load_dword v33, off, s[40:43], 0 offset:2208
	;; [unrolled: 1-line block ×16, first 2 shown]
	v_add_f64 v[46:47], v[68:69], -v[62:63]
	v_add_f64 v[112:113], v[68:69], v[62:63]
	v_add_f64 v[54:55], v[78:79], v[80:81]
	v_add_f64 v[114:115], v[78:79], -v[80:81]
	v_mul_f64 v[24:25], v[46:47], s[34:35]
	v_fma_f64 v[26:27], v[54:55], s[4:5], v[24:25]
	s_waitcnt vmcnt(8)
	v_mul_f64 v[28:29], v[34:35], v[2:3]
	v_mul_f64 v[30:31], v[34:35], v[0:1]
	v_fma_f64 v[70:71], v[32:33], v[0:1], v[28:29]
	s_waitcnt vmcnt(0)
	v_mul_f64 v[28:29], v[38:39], v[6:7]
	v_fma_f64 v[84:85], v[32:33], v[2:3], -v[30:31]
	v_mul_f64 v[30:31], v[38:39], v[4:5]
	v_fma_f64 v[60:61], v[36:37], v[4:5], v[28:29]
	v_fma_f64 v[82:83], v[36:37], v[6:7], -v[30:31]
	s_clause 0xf
	buffer_load_dword v36, off, s[40:43], 0 offset:2172
	buffer_load_dword v37, off, s[40:43], 0 offset:2176
	;; [unrolled: 1-line block ×16, first 2 shown]
	v_add_f64 v[96:97], v[70:71], -v[60:61]
	v_add_f64 v[116:117], v[70:71], v[60:61]
	v_add_f64 v[98:99], v[84:85], v[82:83]
	v_add_f64 v[118:119], v[84:85], -v[82:83]
	v_mul_f64 v[28:29], v[96:97], s[22:23]
	v_fma_f64 v[30:31], v[98:99], s[12:13], v[28:29]
	s_waitcnt vmcnt(8)
	v_mul_f64 v[32:33], v[38:39], v[2:3]
	v_mul_f64 v[34:35], v[38:39], v[0:1]
	v_fma_f64 v[72:73], v[36:37], v[0:1], v[32:33]
	s_waitcnt vmcnt(0)
	v_mul_f64 v[32:33], v[42:43], v[6:7]
	v_fma_f64 v[90:91], v[36:37], v[2:3], -v[34:35]
	v_mul_f64 v[34:35], v[42:43], v[4:5]
	v_fma_f64 v[58:59], v[40:41], v[4:5], v[32:33]
	v_fma_f64 v[86:87], v[40:41], v[6:7], -v[34:35]
	s_clause 0xf
	buffer_load_dword v38, off, s[40:43], 0 offset:2156
	buffer_load_dword v39, off, s[40:43], 0 offset:2160
	;; [unrolled: 1-line block ×16, first 2 shown]
	v_add_f64 v[100:101], v[72:73], -v[58:59]
	v_add_f64 v[120:121], v[72:73], v[58:59]
	v_add_f64 v[102:103], v[90:91], v[86:87]
	v_add_f64 v[122:123], v[90:91], -v[86:87]
	v_mul_f64 v[32:33], v[100:101], s[26:27]
	v_mul_f64 v[128:129], v[122:123], s[28:29]
	;; [unrolled: 1-line block ×4, first 2 shown]
	v_fma_f64 v[34:35], v[102:103], s[0:1], v[32:33]
	v_fma_f64 v[130:131], v[120:121], s[6:7], -v[128:129]
	v_fma_f64 v[138:139], v[120:121], s[14:15], -v[136:137]
	;; [unrolled: 1-line block ×3, first 2 shown]
	s_waitcnt vmcnt(8)
	v_mul_f64 v[36:37], v[40:41], v[6:7]
	v_mul_f64 v[16:17], v[40:41], v[4:5]
	;; [unrolled: 1-line block ×4, first 2 shown]
	v_fma_f64 v[88:89], v[38:39], v[4:5], v[36:37]
	s_waitcnt vmcnt(0)
	v_mul_f64 v[36:37], v[50:51], v[2:3]
	v_fma_f64 v[92:93], v[38:39], v[6:7], -v[16:17]
	v_mul_f64 v[16:17], v[50:51], v[0:1]
	v_fma_f64 v[42:43], v[120:121], s[0:1], -v[40:41]
	v_fma_f64 v[56:57], v[48:49], v[0:1], v[36:37]
	v_fma_f64 v[94:95], v[48:49], v[2:3], -v[16:17]
	v_add_f64 v[104:105], v[88:89], -v[56:57]
	v_add_f64 v[124:125], v[88:89], v[56:57]
	v_add_f64 v[106:107], v[92:93], v[94:95]
	v_add_f64 v[126:127], v[92:93], -v[94:95]
	v_mul_f64 v[36:37], v[104:105], s[24:25]
	v_mul_f64 v[48:49], v[126:127], s[24:25]
	;; [unrolled: 1-line block ×6, first 2 shown]
	v_fma_f64 v[16:17], v[106:107], s[14:15], v[36:37]
	v_fma_f64 v[50:51], v[124:125], s[14:15], -v[48:49]
	v_fma_f64 v[134:135], v[124:125], s[12:13], -v[132:133]
	;; [unrolled: 1-line block ×4, first 2 shown]
	v_add_f64 v[16:17], v[14:15], v[16:17]
	v_add_f64 v[50:51], v[12:13], v[50:51]
	;; [unrolled: 1-line block ×6, first 2 shown]
	v_mul_f64 v[34:35], v[118:119], s[22:23]
	v_add_f64 v[42:43], v[42:43], v[50:51]
	v_add_f64 v[130:131], v[130:131], v[134:135]
	;; [unrolled: 1-line block ×5, first 2 shown]
	v_mul_f64 v[30:31], v[114:115], s[34:35]
	v_fma_f64 v[38:39], v[116:117], s[12:13], -v[34:35]
	v_add_f64 v[16:17], v[26:27], v[16:17]
	v_mul_f64 v[26:27], v[110:111], s[20:21]
	v_add_f64 v[38:39], v[38:39], v[42:43]
	v_add_f64 v[18:19], v[22:23], v[16:17]
	v_fma_f64 v[22:23], v[112:113], s[4:5], -v[30:31]
	v_fma_f64 v[16:17], v[108:109], s[6:7], -v[26:27]
	v_add_f64 v[22:23], v[22:23], v[38:39]
	v_add_f64 v[16:17], v[16:17], v[22:23]
	v_fma_f64 v[22:23], v[54:55], s[4:5], -v[24:25]
	v_fma_f64 v[24:25], v[98:99], s[12:13], -v[28:29]
	;; [unrolled: 1-line block ×4, first 2 shown]
	v_mul_f64 v[36:37], v[100:101], s[28:29]
	v_add_f64 v[32:33], v[14:15], v[32:33]
	v_fma_f64 v[38:39], v[102:103], s[6:7], v[36:37]
	v_fma_f64 v[36:37], v[102:103], s[6:7], -v[36:37]
	v_add_f64 v[28:29], v[28:29], v[32:33]
	v_mul_f64 v[32:33], v[96:97], s[16:17]
	v_add_f64 v[24:25], v[24:25], v[28:29]
	v_fma_f64 v[28:29], v[120:121], s[0:1], v[40:41]
	v_mul_f64 v[40:41], v[104:105], s[22:23]
	v_add_f64 v[22:23], v[22:23], v[24:25]
	v_fma_f64 v[24:25], v[112:113], s[4:5], v[30:31]
	v_fma_f64 v[30:31], v[124:125], s[14:15], v[48:49]
	;; [unrolled: 1-line block ×3, first 2 shown]
	v_fma_f64 v[40:41], v[106:107], s[12:13], -v[40:41]
	v_mul_f64 v[48:49], v[118:119], s[16:17]
	v_add_f64 v[22:23], v[20:21], v[22:23]
	v_fma_f64 v[20:21], v[108:109], s[6:7], v[26:27]
	v_add_f64 v[30:31], v[12:13], v[30:31]
	v_fma_f64 v[26:27], v[116:117], s[12:13], v[34:35]
	v_add_f64 v[42:43], v[14:15], v[42:43]
	v_add_f64 v[40:41], v[14:15], v[40:41]
	v_fma_f64 v[34:35], v[98:99], s[0:1], v[32:33]
	v_fma_f64 v[32:33], v[98:99], s[0:1], -v[32:33]
	v_fma_f64 v[50:51], v[116:117], s[0:1], -v[48:49]
	v_add_f64 v[28:29], v[28:29], v[30:31]
	v_mul_f64 v[30:31], v[46:47], s[24:25]
	v_add_f64 v[38:39], v[38:39], v[42:43]
	v_add_f64 v[36:37], v[36:37], v[40:41]
	v_mul_f64 v[40:41], v[96:97], s[34:35]
	v_add_f64 v[50:51], v[50:51], v[130:131]
	;; [unrolled: 3-line block ×3, first 2 shown]
	v_mul_f64 v[38:39], v[114:115], s[24:25]
	v_add_f64 v[32:33], v[32:33], v[36:37]
	v_fma_f64 v[36:37], v[120:121], s[6:7], v[128:129]
	v_mul_f64 v[128:129], v[104:105], s[20:21]
	v_add_f64 v[24:25], v[24:25], v[26:27]
	v_fma_f64 v[26:27], v[54:55], s[14:15], v[30:31]
	v_fma_f64 v[30:31], v[54:55], s[14:15], -v[30:31]
	v_fma_f64 v[42:43], v[112:113], s[14:15], -v[38:39]
	v_fma_f64 v[130:131], v[106:107], s[6:7], v[128:129]
	v_add_f64 v[20:21], v[20:21], v[24:25]
	v_fma_f64 v[24:25], v[52:53], s[4:5], v[28:29]
	v_add_f64 v[26:27], v[26:27], v[34:35]
	v_mul_f64 v[34:35], v[110:111], s[34:35]
	v_fma_f64 v[28:29], v[52:53], s[4:5], -v[28:29]
	v_add_f64 v[30:31], v[30:31], v[32:33]
	v_fma_f64 v[32:33], v[112:113], s[14:15], v[38:39]
	v_fma_f64 v[38:39], v[124:125], s[12:13], v[132:133]
	v_add_f64 v[42:43], v[42:43], v[50:51]
	v_add_f64 v[130:131], v[14:15], v[130:131]
	v_mul_f64 v[132:133], v[118:119], s[34:35]
	v_add_f64 v[26:27], v[24:25], v[26:27]
	v_fma_f64 v[24:25], v[108:109], s[4:5], -v[34:35]
	v_add_f64 v[30:31], v[28:29], v[30:31]
	v_fma_f64 v[28:29], v[108:109], s[4:5], v[34:35]
	v_fma_f64 v[34:35], v[116:117], s[0:1], v[48:49]
	v_add_f64 v[38:39], v[12:13], v[38:39]
	v_mul_f64 v[48:49], v[100:101], s[30:31]
	v_fma_f64 v[134:135], v[116:117], s[4:5], -v[132:133]
	v_add_f64 v[24:25], v[24:25], v[42:43]
	v_fma_f64 v[42:43], v[98:99], s[4:5], v[40:41]
	v_fma_f64 v[40:41], v[98:99], s[4:5], -v[40:41]
	v_add_f64 v[36:37], v[36:37], v[38:39]
	v_fma_f64 v[50:51], v[102:103], s[14:15], v[48:49]
	v_mul_f64 v[38:39], v[46:47], s[16:17]
	v_add_f64 v[134:135], v[134:135], v[138:139]
	v_add_f64 v[34:35], v[34:35], v[36:37]
	;; [unrolled: 1-line block ×3, first 2 shown]
	v_mul_f64 v[36:37], v[44:45], s[22:23]
	v_mul_f64 v[130:131], v[114:115], s[16:17]
	v_add_f64 v[32:33], v[32:33], v[34:35]
	v_fma_f64 v[34:35], v[54:55], s[0:1], v[38:39]
	v_add_f64 v[42:43], v[42:43], v[50:51]
	v_mul_f64 v[50:51], v[110:111], s[22:23]
	v_fma_f64 v[38:39], v[54:55], s[0:1], -v[38:39]
	v_add_f64 v[28:29], v[28:29], v[32:33]
	v_fma_f64 v[32:33], v[52:53], s[12:13], v[36:37]
	v_add_f64 v[34:35], v[34:35], v[42:43]
	v_fma_f64 v[42:43], v[112:113], s[0:1], -v[130:131]
	v_fma_f64 v[36:37], v[52:53], s[12:13], -v[36:37]
	v_add_f64 v[34:35], v[32:33], v[34:35]
	v_fma_f64 v[32:33], v[108:109], s[12:13], -v[50:51]
	v_add_f64 v[42:43], v[42:43], v[134:135]
	v_add_f64 v[32:33], v[32:33], v[42:43]
	v_fma_f64 v[42:43], v[102:103], s[14:15], -v[48:49]
	v_fma_f64 v[48:49], v[106:107], s[6:7], -v[128:129]
	v_mul_f64 v[128:129], v[96:97], s[30:31]
	v_mul_f64 v[96:97], v[96:97], s[20:21]
	v_add_f64 v[48:49], v[14:15], v[48:49]
	v_add_f64 v[42:43], v[42:43], v[48:49]
	v_fma_f64 v[48:49], v[120:121], s[14:15], v[136:137]
	v_mul_f64 v[136:137], v[104:105], s[18:19]
	v_mul_f64 v[104:105], v[104:105], s[16:17]
	v_add_f64 v[40:41], v[40:41], v[42:43]
	v_fma_f64 v[138:139], v[106:107], s[4:5], v[136:137]
	v_fma_f64 v[136:137], v[106:107], s[4:5], -v[136:137]
	v_add_f64 v[38:39], v[38:39], v[40:41]
	v_fma_f64 v[40:41], v[116:117], s[4:5], v[132:133]
	v_mul_f64 v[132:133], v[100:101], s[22:23]
	v_add_f64 v[138:139], v[14:15], v[138:139]
	v_add_f64 v[136:137], v[14:15], v[136:137]
	v_mul_f64 v[100:101], v[100:101], s[18:19]
	v_add_f64 v[42:43], v[36:37], v[38:39]
	v_fma_f64 v[36:37], v[108:109], s[12:13], v[50:51]
	v_fma_f64 v[50:51], v[124:125], s[6:7], v[140:141]
	;; [unrolled: 1-line block ×4, first 2 shown]
	v_fma_f64 v[132:133], v[102:103], s[12:13], -v[132:133]
	v_fma_f64 v[130:131], v[98:99], s[14:15], v[128:129]
	v_fma_f64 v[128:129], v[98:99], s[14:15], -v[128:129]
	v_mul_f64 v[140:141], v[118:119], s[30:31]
	v_mul_f64 v[118:119], v[118:119], s[20:21]
	v_add_f64 v[50:51], v[12:13], v[50:51]
	v_add_f64 v[134:135], v[134:135], v[138:139]
	;; [unrolled: 1-line block ×3, first 2 shown]
	v_fma_f64 v[136:137], v[106:107], s[0:1], v[104:105]
	v_fma_f64 v[142:143], v[116:117], s[14:15], -v[140:141]
	v_add_f64 v[48:49], v[48:49], v[50:51]
	v_mul_f64 v[50:51], v[46:47], s[28:29]
	v_add_f64 v[130:131], v[130:131], v[134:135]
	v_mul_f64 v[134:135], v[114:115], s[28:29]
	v_add_f64 v[128:129], v[128:129], v[132:133]
	v_fma_f64 v[132:133], v[120:121], s[12:13], v[144:145]
	v_add_f64 v[142:143], v[142:143], v[146:147]
	v_add_f64 v[136:137], v[14:15], v[136:137]
	v_mul_f64 v[114:115], v[114:115], s[22:23]
	v_add_f64 v[40:41], v[40:41], v[48:49]
	v_mul_f64 v[48:49], v[44:45], s[26:27]
	v_fma_f64 v[138:139], v[112:113], s[6:7], -v[134:135]
	v_add_f64 v[38:39], v[38:39], v[40:41]
	v_add_f64 v[138:139], v[138:139], v[142:143]
	;; [unrolled: 1-line block ×3, first 2 shown]
	v_fma_f64 v[38:39], v[54:55], s[6:7], v[50:51]
	v_fma_f64 v[50:51], v[54:55], s[6:7], -v[50:51]
	v_fma_f64 v[36:37], v[52:53], s[0:1], v[48:49]
	v_fma_f64 v[48:49], v[52:53], s[0:1], -v[48:49]
	v_add_f64 v[38:39], v[38:39], v[130:131]
	v_add_f64 v[50:51], v[50:51], v[128:129]
	v_fma_f64 v[128:129], v[112:113], s[6:7], v[134:135]
	v_fma_f64 v[134:135], v[124:125], s[4:5], v[148:149]
	v_mul_f64 v[130:131], v[110:111], s[26:27]
	v_mul_f64 v[110:111], v[110:111], s[24:25]
	v_add_f64 v[38:39], v[36:37], v[38:39]
	v_add_f64 v[50:51], v[48:49], v[50:51]
	;; [unrolled: 1-line block ×3, first 2 shown]
	v_fma_f64 v[36:37], v[108:109], s[0:1], -v[130:131]
	v_fma_f64 v[48:49], v[108:109], s[0:1], v[130:131]
	v_fma_f64 v[130:131], v[116:117], s[14:15], v[140:141]
	v_add_f64 v[132:133], v[132:133], v[134:135]
	v_add_f64 v[36:37], v[36:37], v[138:139]
	v_fma_f64 v[134:135], v[102:103], s[4:5], v[100:101]
	v_fma_f64 v[138:139], v[124:125], s[0:1], -v[126:127]
	v_add_f64 v[130:131], v[130:131], v[132:133]
	v_fma_f64 v[132:133], v[98:99], s[6:7], v[96:97]
	v_fma_f64 v[96:97], v[98:99], s[6:7], -v[96:97]
	v_fma_f64 v[98:99], v[102:103], s[4:5], -v[100:101]
	v_fma_f64 v[102:103], v[124:125], s[0:1], v[126:127]
	v_add_f64 v[138:139], v[12:13], v[138:139]
	v_fma_f64 v[100:101], v[106:107], s[0:1], -v[104:105]
	v_add_f64 v[134:135], v[134:135], v[136:137]
	v_fma_f64 v[136:137], v[120:121], s[4:5], -v[122:123]
	v_add_f64 v[128:129], v[128:129], v[130:131]
	v_mul_f64 v[130:131], v[46:47], s[22:23]
	v_add_f64 v[102:103], v[12:13], v[102:103]
	v_add_f64 v[12:13], v[12:13], v[88:89]
	;; [unrolled: 1-line block ×5, first 2 shown]
	v_fma_f64 v[134:135], v[116:117], s[6:7], -v[118:119]
	v_add_f64 v[136:137], v[136:137], v[138:139]
	v_add_f64 v[48:49], v[48:49], v[128:129]
	v_mul_f64 v[128:129], v[44:45], s[24:25]
	v_fma_f64 v[46:47], v[54:55], s[12:13], v[130:131]
	v_fma_f64 v[54:55], v[54:55], s[12:13], -v[130:131]
	v_add_f64 v[12:13], v[12:13], v[72:73]
	v_add_f64 v[98:99], v[98:99], v[100:101]
	;; [unrolled: 1-line block ×3, first 2 shown]
	v_fma_f64 v[100:101], v[120:121], s[4:5], v[122:123]
	v_add_f64 v[134:135], v[134:135], v[136:137]
	v_fma_f64 v[44:45], v[52:53], s[14:15], v[128:129]
	v_fma_f64 v[52:53], v[52:53], s[14:15], -v[128:129]
	v_add_f64 v[46:47], v[46:47], v[132:133]
	v_fma_f64 v[132:133], v[112:113], s[12:13], -v[114:115]
	v_add_f64 v[12:13], v[12:13], v[70:71]
	v_add_f64 v[96:97], v[96:97], v[98:99]
	;; [unrolled: 1-line block ×3, first 2 shown]
	v_fma_f64 v[98:99], v[116:117], s[6:7], v[118:119]
	v_add_f64 v[100:101], v[100:101], v[102:103]
	v_add_f64 v[46:47], v[44:45], v[46:47]
	v_fma_f64 v[44:45], v[108:109], s[14:15], -v[110:111]
	v_add_f64 v[12:13], v[12:13], v[68:69]
	v_add_f64 v[54:55], v[54:55], v[96:97]
	;; [unrolled: 1-line block ×3, first 2 shown]
	v_fma_f64 v[96:97], v[112:113], s[12:13], v[114:115]
	v_add_f64 v[98:99], v[98:99], v[100:101]
	v_add_f64 v[132:133], v[132:133], v[134:135]
	;; [unrolled: 1-line block ×5, first 2 shown]
	v_fma_f64 v[52:53], v[108:109], s[14:15], v[110:111]
	v_add_f64 v[96:97], v[96:97], v[98:99]
	v_add_f64 v[44:45], v[44:45], v[132:133]
	;; [unrolled: 1-line block ×12, first 2 shown]
	buffer_load_dword v57, off, s[40:43], 0 offset:732 ; 4-byte Folded Reload
	v_mov_b32_e32 v56, 0x4d
	v_add_f64 v[14:15], v[14:15], v[94:95]
	s_waitcnt vmcnt(0)
	v_mul_u32_u24_sdwa v56, v57, v56 dst_sel:DWORD dst_unused:UNUSED_PAD src0_sel:WORD_0 src1_sel:DWORD
	buffer_load_dword v57, off, s[40:43], 0 offset:736 ; 4-byte Folded Reload
	s_waitcnt vmcnt(0)
	v_add_lshl_u32 v56, v56, v57, 4
	ds_write_b128 v56, v[12:15]
	ds_write_b128 v56, v[52:55] offset:112
	ds_write_b128 v56, v[48:51] offset:224
	;; [unrolled: 1-line block ×10, first 2 shown]
.LBB0_9:
	s_or_b32 exec_lo, exec_lo, s33
	s_waitcnt lgkmcnt(0)
	s_barrier
	buffer_gl0_inv
	ds_read_b128 v[12:15], v230 offset:6160
	s_clause 0x3
	buffer_load_dword v0, off, s[40:43], 0 offset:1300
	buffer_load_dword v1, off, s[40:43], 0 offset:1304
	;; [unrolled: 1-line block ×4, first 2 shown]
	s_mov_b32 s6, 0x134454ff
	s_mov_b32 s7, 0xbfee6f0e
	;; [unrolled: 1-line block ×10, first 2 shown]
	s_waitcnt vmcnt(0) lgkmcnt(0)
	v_mul_f64 v[16:17], v[2:3], v[14:15]
	v_fma_f64 v[24:25], v[0:1], v[12:13], v[16:17]
	v_mul_f64 v[12:13], v[2:3], v[12:13]
	v_fma_f64 v[26:27], v[0:1], v[14:15], -v[12:13]
	ds_read_b128 v[12:15], v230 offset:12320
	s_clause 0x3
	buffer_load_dword v0, off, s[40:43], 0 offset:1284
	buffer_load_dword v1, off, s[40:43], 0 offset:1288
	;; [unrolled: 1-line block ×4, first 2 shown]
	s_waitcnt vmcnt(0) lgkmcnt(0)
	v_mul_f64 v[16:17], v[2:3], v[14:15]
	v_fma_f64 v[28:29], v[0:1], v[12:13], v[16:17]
	v_mul_f64 v[12:13], v[2:3], v[12:13]
	v_fma_f64 v[32:33], v[0:1], v[14:15], -v[12:13]
	ds_read_b128 v[12:15], v230 offset:18480
	s_clause 0x3
	buffer_load_dword v0, off, s[40:43], 0 offset:1268
	buffer_load_dword v1, off, s[40:43], 0 offset:1272
	;; [unrolled: 1-line block ×4, first 2 shown]
	s_waitcnt vmcnt(0) lgkmcnt(0)
	v_mul_f64 v[16:17], v[2:3], v[14:15]
	v_fma_f64 v[30:31], v[0:1], v[12:13], v[16:17]
	v_mul_f64 v[12:13], v[2:3], v[12:13]
	v_add_f64 v[66:67], v[28:29], -v[30:31]
	v_fma_f64 v[34:35], v[0:1], v[14:15], -v[12:13]
	ds_read_b128 v[12:15], v230 offset:24640
	s_clause 0x3
	buffer_load_dword v0, off, s[40:43], 0 offset:1252
	buffer_load_dword v1, off, s[40:43], 0 offset:1256
	;; [unrolled: 1-line block ×4, first 2 shown]
	v_add_f64 v[18:19], v[32:33], v[34:35]
	v_add_f64 v[60:61], v[32:33], -v[34:35]
	s_waitcnt vmcnt(0) lgkmcnt(0)
	v_mul_f64 v[16:17], v[2:3], v[14:15]
	v_fma_f64 v[36:37], v[0:1], v[12:13], v[16:17]
	v_mul_f64 v[12:13], v[2:3], v[12:13]
	v_add_f64 v[64:65], v[24:25], -v[36:37]
	v_fma_f64 v[38:39], v[0:1], v[14:15], -v[12:13]
	ds_read_b128 v[12:15], v230 offset:7040
	s_clause 0x3
	buffer_load_dword v0, off, s[40:43], 0 offset:1396
	buffer_load_dword v1, off, s[40:43], 0 offset:1400
	;; [unrolled: 1-line block ×4, first 2 shown]
	v_add_f64 v[42:43], v[26:27], -v[38:39]
	s_waitcnt vmcnt(0) lgkmcnt(0)
	v_mul_f64 v[16:17], v[2:3], v[14:15]
	v_fma_f64 v[44:45], v[0:1], v[12:13], v[16:17]
	v_mul_f64 v[12:13], v[2:3], v[12:13]
	v_fma_f64 v[48:49], v[0:1], v[14:15], -v[12:13]
	ds_read_b128 v[12:15], v230 offset:13200
	s_clause 0x3
	buffer_load_dword v0, off, s[40:43], 0 offset:1364
	buffer_load_dword v1, off, s[40:43], 0 offset:1368
	;; [unrolled: 1-line block ×4, first 2 shown]
	s_waitcnt vmcnt(0) lgkmcnt(0)
	v_mul_f64 v[16:17], v[2:3], v[14:15]
	v_fma_f64 v[46:47], v[0:1], v[12:13], v[16:17]
	v_mul_f64 v[12:13], v[2:3], v[12:13]
	v_add_f64 v[152:153], v[44:45], -v[46:47]
	v_fma_f64 v[50:51], v[0:1], v[14:15], -v[12:13]
	ds_read_b128 v[12:15], v230 offset:19360
	s_clause 0x3
	buffer_load_dword v0, off, s[40:43], 0 offset:1332
	buffer_load_dword v1, off, s[40:43], 0 offset:1336
	;; [unrolled: 1-line block ×4, first 2 shown]
	s_waitcnt vmcnt(0) lgkmcnt(0)
	v_mul_f64 v[16:17], v[2:3], v[14:15]
	v_fma_f64 v[52:53], v[0:1], v[12:13], v[16:17]
	v_mul_f64 v[12:13], v[2:3], v[12:13]
	v_fma_f64 v[54:55], v[0:1], v[14:15], -v[12:13]
	ds_read_b128 v[12:15], v230 offset:25520
	s_clause 0x3
	buffer_load_dword v0, off, s[40:43], 0 offset:1316
	buffer_load_dword v1, off, s[40:43], 0 offset:1320
	;; [unrolled: 1-line block ×4, first 2 shown]
	s_waitcnt vmcnt(0) lgkmcnt(0)
	v_mul_f64 v[16:17], v[2:3], v[14:15]
	v_fma_f64 v[56:57], v[0:1], v[12:13], v[16:17]
	v_mul_f64 v[12:13], v[2:3], v[12:13]
	v_add_f64 v[138:139], v[44:45], -v[56:57]
	v_fma_f64 v[58:59], v[0:1], v[14:15], -v[12:13]
	ds_read_b128 v[12:15], v230 offset:7920
	s_clause 0x3
	buffer_load_dword v0, off, s[40:43], 0 offset:1428
	buffer_load_dword v1, off, s[40:43], 0 offset:1432
	buffer_load_dword v2, off, s[40:43], 0 offset:1436
	buffer_load_dword v3, off, s[40:43], 0 offset:1440
	s_waitcnt vmcnt(0) lgkmcnt(0)
	v_mul_f64 v[16:17], v[2:3], v[14:15]
	v_fma_f64 v[140:141], v[0:1], v[12:13], v[16:17]
	v_mul_f64 v[12:13], v[2:3], v[12:13]
	v_fma_f64 v[132:133], v[0:1], v[14:15], -v[12:13]
	ds_read_b128 v[12:15], v230 offset:14080
	s_clause 0x3
	buffer_load_dword v0, off, s[40:43], 0 offset:1412
	buffer_load_dword v1, off, s[40:43], 0 offset:1416
	buffer_load_dword v2, off, s[40:43], 0 offset:1420
	buffer_load_dword v3, off, s[40:43], 0 offset:1424
	s_waitcnt vmcnt(0) lgkmcnt(0)
	v_mul_f64 v[16:17], v[2:3], v[14:15]
	v_fma_f64 v[146:147], v[0:1], v[12:13], v[16:17]
	v_mul_f64 v[12:13], v[2:3], v[12:13]
	;; [unrolled: 11-line block ×19, first 2 shown]
	v_fma_f64 v[74:75], v[0:1], v[14:15], -v[12:13]
	ds_read_b128 v[12:15], v230 offset:29920
	s_clause 0x3
	buffer_load_dword v0, off, s[40:43], 0 offset:1636
	buffer_load_dword v1, off, s[40:43], 0 offset:1640
	;; [unrolled: 1-line block ×4, first 2 shown]
	ds_read_b128 v[20:23], v230
	s_waitcnt lgkmcnt(0)
	v_fma_f64 v[62:63], v[18:19], -0.5, v[22:23]
	v_fma_f64 v[18:19], v[64:65], s[14:15], v[62:63]
	v_fma_f64 v[62:63], v[64:65], s[6:7], v[62:63]
	v_fma_f64 v[18:19], v[66:67], s[4:5], v[18:19]
	v_fma_f64 v[62:63], v[66:67], s[0:1], v[62:63]
	s_waitcnt vmcnt(0)
	v_mul_f64 v[16:17], v[2:3], v[14:15]
	v_fma_f64 v[82:83], v[0:1], v[12:13], v[16:17]
	v_mul_f64 v[12:13], v[2:3], v[12:13]
	v_add_f64 v[16:17], v[38:39], -v[34:35]
	v_fma_f64 v[80:81], v[0:1], v[14:15], -v[12:13]
	v_add_f64 v[12:13], v[24:25], -v[28:29]
	v_add_f64 v[14:15], v[36:37], -v[30:31]
	v_add_f64 v[12:13], v[12:13], v[14:15]
	v_add_f64 v[14:15], v[26:27], -v[32:33]
	v_add_f64 v[14:15], v[14:15], v[16:17]
	v_add_f64 v[16:17], v[28:29], v[30:31]
	v_fma_f64 v[18:19], v[14:15], s[12:13], v[18:19]
	v_fma_f64 v[40:41], v[16:17], -0.5, v[20:21]
	v_fma_f64 v[14:15], v[14:15], s[12:13], v[62:63]
	v_add_f64 v[62:63], v[26:27], v[38:39]
	v_fma_f64 v[16:17], v[42:43], s[6:7], v[40:41]
	v_fma_f64 v[40:41], v[42:43], s[14:15], v[40:41]
	v_fma_f64 v[62:63], v[62:63], -0.5, v[22:23]
	v_add_f64 v[22:23], v[22:23], v[26:27]
	v_fma_f64 v[16:17], v[60:61], s[0:1], v[16:17]
	v_fma_f64 v[40:41], v[60:61], s[4:5], v[40:41]
	v_add_f64 v[22:23], v[22:23], v[32:33]
	v_fma_f64 v[16:17], v[12:13], s[12:13], v[16:17]
	v_fma_f64 v[12:13], v[12:13], s[12:13], v[40:41]
	v_add_f64 v[40:41], v[24:25], v[36:37]
	v_add_f64 v[22:23], v[22:23], v[34:35]
	v_fma_f64 v[40:41], v[40:41], -0.5, v[20:21]
	v_add_f64 v[20:21], v[20:21], v[24:25]
	v_add_f64 v[24:25], v[28:29], -v[24:25]
	v_fma_f64 v[136:137], v[60:61], s[14:15], v[40:41]
	v_add_f64 v[20:21], v[20:21], v[28:29]
	v_fma_f64 v[40:41], v[60:61], s[6:7], v[40:41]
	v_add_f64 v[60:61], v[30:31], -v[36:37]
	v_add_f64 v[20:21], v[20:21], v[30:31]
	v_add_f64 v[30:31], v[22:23], v[38:39]
	v_add_f64 v[22:23], v[34:35], -v[38:39]
	v_add_f64 v[24:25], v[24:25], v[60:61]
	v_fma_f64 v[34:35], v[42:43], s[0:1], v[136:137]
	v_fma_f64 v[40:41], v[42:43], s[4:5], v[40:41]
	v_add_f64 v[136:137], v[46:47], -v[52:53]
	v_add_f64 v[28:29], v[20:21], v[36:37]
	v_add_f64 v[20:21], v[32:33], -v[26:27]
	v_fma_f64 v[26:27], v[66:67], s[6:7], v[62:63]
	v_fma_f64 v[32:33], v[66:67], s[14:15], v[62:63]
	v_fma_f64 v[36:37], v[24:25], s[12:13], v[34:35]
	v_add_f64 v[62:63], v[50:51], -v[54:55]
	v_add_f64 v[22:23], v[20:21], v[22:23]
	v_fma_f64 v[20:21], v[64:65], s[4:5], v[26:27]
	v_fma_f64 v[26:27], v[64:65], s[0:1], v[32:33]
	v_add_f64 v[64:65], v[48:49], -v[58:59]
	v_fma_f64 v[38:39], v[22:23], s[12:13], v[20:21]
	v_fma_f64 v[20:21], v[24:25], s[12:13], v[40:41]
	;; [unrolled: 1-line block ×3, first 2 shown]
	v_add_f64 v[24:25], v[46:47], -v[44:45]
	v_add_f64 v[26:27], v[52:53], -v[56:57]
	ds_read_b128 v[40:43], v230 offset:880
	v_add_f64 v[32:33], v[24:25], v[26:27]
	v_add_f64 v[24:25], v[50:51], -v[48:49]
	v_add_f64 v[26:27], v[54:55], -v[58:59]
	v_add_f64 v[34:35], v[24:25], v[26:27]
	v_add_f64 v[24:25], v[44:45], v[56:57]
	;; [unrolled: 1-line block ×3, first 2 shown]
	s_waitcnt lgkmcnt(0)
	v_fma_f64 v[60:61], v[24:25], -0.5, v[40:41]
	v_fma_f64 v[66:67], v[26:27], -0.5, v[42:43]
	v_fma_f64 v[24:25], v[62:63], s[14:15], v[60:61]
	v_fma_f64 v[26:27], v[136:137], s[6:7], v[66:67]
	;; [unrolled: 1-line block ×12, first 2 shown]
	v_add_f64 v[60:61], v[46:47], v[52:53]
	v_add_f64 v[66:67], v[50:51], v[54:55]
	v_fma_f64 v[60:61], v[60:61], -0.5, v[40:41]
	v_fma_f64 v[66:67], v[66:67], -0.5, v[42:43]
	v_add_f64 v[40:41], v[40:41], v[44:45]
	v_add_f64 v[42:43], v[42:43], v[48:49]
	v_fma_f64 v[154:155], v[64:65], s[6:7], v[60:61]
	v_fma_f64 v[60:61], v[64:65], s[14:15], v[60:61]
	v_add_f64 v[40:41], v[40:41], v[46:47]
	v_add_f64 v[42:43], v[42:43], v[50:51]
	;; [unrolled: 1-line block ×4, first 2 shown]
	v_add_f64 v[52:53], v[56:57], -v[52:53]
	v_add_f64 v[44:45], v[40:41], v[56:57]
	v_add_f64 v[46:47], v[42:43], v[58:59]
	v_add_f64 v[40:41], v[48:49], -v[50:51]
	v_add_f64 v[42:43], v[58:59], -v[54:55]
	v_fma_f64 v[48:49], v[138:139], s[14:15], v[66:67]
	v_fma_f64 v[50:51], v[138:139], s[6:7], v[66:67]
	v_add_f64 v[52:53], v[152:153], v[52:53]
	v_fma_f64 v[54:55], v[62:63], s[0:1], v[154:155]
	v_fma_f64 v[56:57], v[62:63], s[4:5], v[60:61]
	v_add_f64 v[42:43], v[40:41], v[42:43]
	v_fma_f64 v[40:41], v[136:137], s[4:5], v[48:49]
	v_fma_f64 v[58:59], v[136:137], s[0:1], v[50:51]
	v_fma_f64 v[48:49], v[52:53], s[12:13], v[54:55]
	v_fma_f64 v[50:51], v[42:43], s[12:13], v[40:41]
	v_fma_f64 v[40:41], v[52:53], s[12:13], v[56:57]
	v_fma_f64 v[42:43], v[42:43], s[12:13], v[58:59]
	ds_read_b128 v[52:55], v230 offset:5280
	ds_read_b128 v[136:139], v230 offset:1760
	;; [unrolled: 1-line block ×5, first 2 shown]
	s_waitcnt lgkmcnt(0)
	s_barrier
	buffer_gl0_inv
	ds_write_b128 v230, v[28:31]
	ds_write_b128 v230, v[16:19] offset:1232
	ds_write_b128 v230, v[36:39] offset:2464
	;; [unrolled: 1-line block ×4, first 2 shown]
	buffer_load_dword v0, off, s[40:43], 0 offset:1720 ; 4-byte Folded Reload
	v_add_f64 v[12:13], v[146:147], -v[140:141]
	v_add_f64 v[14:15], v[144:145], -v[150:151]
	;; [unrolled: 1-line block ×6, first 2 shown]
	s_waitcnt vmcnt(0)
	ds_write_b128 v0, v[44:47]
	ds_write_b128 v0, v[48:51] offset:1232
	ds_write_b128 v0, v[24:27] offset:2464
	;; [unrolled: 1-line block ×4, first 2 shown]
	buffer_load_dword v0, off, s[40:43], 0 offset:1716 ; 4-byte Folded Reload
	v_add_f64 v[16:17], v[12:13], v[14:15]
	v_add_f64 v[12:13], v[134:135], -v[132:133]
	v_add_f64 v[14:15], v[142:143], -v[148:149]
	;; [unrolled: 1-line block ×3, first 2 shown]
	v_add_f64 v[32:33], v[136:137], v[140:141]
	v_add_f64 v[34:35], v[138:139], v[132:133]
	v_add_f64 v[42:43], v[148:149], -v[142:143]
	v_add_f64 v[18:19], v[12:13], v[14:15]
	v_add_f64 v[12:13], v[140:141], v[150:151]
	;; [unrolled: 1-line block ×4, first 2 shown]
	v_fma_f64 v[20:21], v[12:13], -0.5, v[136:137]
	v_fma_f64 v[26:27], v[14:15], -0.5, v[138:139]
	v_fma_f64 v[12:13], v[24:25], s[14:15], v[20:21]
	v_fma_f64 v[20:21], v[24:25], s[6:7], v[20:21]
	;; [unrolled: 1-line block ×10, first 2 shown]
	v_add_f64 v[20:21], v[146:147], v[144:145]
	v_fma_f64 v[14:15], v[18:19], s[12:13], v[14:15]
	v_fma_f64 v[18:19], v[18:19], s[12:13], v[26:27]
	v_add_f64 v[26:27], v[134:135], v[142:143]
	v_fma_f64 v[20:21], v[20:21], -0.5, v[136:137]
	v_fma_f64 v[26:27], v[26:27], -0.5, v[138:139]
	v_fma_f64 v[38:39], v[22:23], s[6:7], v[20:21]
	v_fma_f64 v[40:41], v[22:23], s[14:15], v[20:21]
	v_add_f64 v[20:21], v[34:35], v[134:135]
	v_add_f64 v[22:23], v[32:33], v[144:145]
	v_add_f64 v[34:35], v[150:151], -v[144:145]
	v_fma_f64 v[44:45], v[30:31], s[14:15], v[26:27]
	v_fma_f64 v[26:27], v[30:31], s[6:7], v[26:27]
	v_add_f64 v[32:33], v[20:21], v[142:143]
	v_add_f64 v[20:21], v[22:23], v[150:151]
	;; [unrolled: 1-line block ×3, first 2 shown]
	v_fma_f64 v[34:35], v[24:25], s[0:1], v[38:39]
	v_fma_f64 v[38:39], v[28:29], s[4:5], v[44:45]
	;; [unrolled: 1-line block ×4, first 2 shown]
	v_add_f64 v[22:23], v[32:33], v[148:149]
	v_add_f64 v[32:33], v[132:133], -v[134:135]
	v_fma_f64 v[24:25], v[30:31], s[12:13], v[34:35]
	v_add_f64 v[34:35], v[66:67], v[116:117]
	v_fma_f64 v[28:29], v[30:31], s[12:13], v[36:37]
	v_add_f64 v[36:37], v[120:121], -v[126:127]
	v_add_f64 v[32:33], v[32:33], v[42:43]
	v_add_f64 v[42:43], v[128:129], -v[122:123]
	v_fma_f64 v[26:27], v[32:33], s[12:13], v[38:39]
	v_fma_f64 v[30:31], v[32:33], s[12:13], v[40:41]
	s_waitcnt vmcnt(0)
	ds_write_b128 v0, v[20:23]
	ds_write_b128 v0, v[24:27] offset:1232
	ds_write_b128 v0, v[12:15] offset:2464
	;; [unrolled: 1-line block ×4, first 2 shown]
	buffer_load_dword v0, off, s[40:43], 0 offset:1712 ; 4-byte Folded Reload
	v_add_f64 v[12:13], v[126:127], -v[120:121]
	v_add_f64 v[14:15], v[124:125], -v[130:131]
	;; [unrolled: 1-line block ×6, first 2 shown]
	v_add_f64 v[32:33], v[64:65], v[120:121]
	v_add_f64 v[16:17], v[12:13], v[14:15]
	v_add_f64 v[12:13], v[118:119], -v[116:117]
	v_add_f64 v[14:15], v[122:123], -v[128:129]
	v_add_f64 v[32:33], v[32:33], v[126:127]
	v_add_f64 v[18:19], v[12:13], v[14:15]
	;; [unrolled: 1-line block ×4, first 2 shown]
	v_fma_f64 v[20:21], v[12:13], -0.5, v[64:65]
	v_fma_f64 v[26:27], v[14:15], -0.5, v[66:67]
	v_fma_f64 v[12:13], v[24:25], s[14:15], v[20:21]
	v_fma_f64 v[20:21], v[24:25], s[6:7], v[20:21]
	;; [unrolled: 1-line block ×10, first 2 shown]
	v_add_f64 v[20:21], v[126:127], v[124:125]
	v_fma_f64 v[14:15], v[18:19], s[12:13], v[14:15]
	v_fma_f64 v[18:19], v[18:19], s[12:13], v[26:27]
	v_add_f64 v[26:27], v[118:119], v[122:123]
	v_fma_f64 v[20:21], v[20:21], -0.5, v[64:65]
	v_fma_f64 v[26:27], v[26:27], -0.5, v[66:67]
	v_fma_f64 v[38:39], v[22:23], s[6:7], v[20:21]
	v_fma_f64 v[40:41], v[22:23], s[14:15], v[20:21]
	v_add_f64 v[20:21], v[34:35], v[118:119]
	v_add_f64 v[22:23], v[32:33], v[124:125]
	v_add_f64 v[34:35], v[130:131], -v[124:125]
	v_fma_f64 v[44:45], v[30:31], s[14:15], v[26:27]
	v_fma_f64 v[26:27], v[30:31], s[6:7], v[26:27]
	v_add_f64 v[32:33], v[20:21], v[122:123]
	v_add_f64 v[20:21], v[22:23], v[130:131]
	;; [unrolled: 1-line block ×3, first 2 shown]
	v_fma_f64 v[34:35], v[24:25], s[0:1], v[38:39]
	v_fma_f64 v[38:39], v[28:29], s[4:5], v[44:45]
	;; [unrolled: 1-line block ×4, first 2 shown]
	v_add_f64 v[22:23], v[32:33], v[128:129]
	v_add_f64 v[32:33], v[116:117], -v[118:119]
	v_fma_f64 v[24:25], v[30:31], s[12:13], v[34:35]
	v_add_f64 v[34:35], v[62:63], v[100:101]
	v_fma_f64 v[28:29], v[30:31], s[12:13], v[36:37]
	v_add_f64 v[36:37], v[104:105], -v[110:111]
	v_add_f64 v[32:33], v[32:33], v[42:43]
	v_add_f64 v[42:43], v[112:113], -v[106:107]
	v_fma_f64 v[26:27], v[32:33], s[12:13], v[38:39]
	v_fma_f64 v[30:31], v[32:33], s[12:13], v[40:41]
	s_waitcnt vmcnt(0)
	ds_write_b128 v0, v[20:23] offset:12320
	ds_write_b128 v0, v[24:27] offset:13552
	;; [unrolled: 1-line block ×5, first 2 shown]
	buffer_load_dword v0, off, s[40:43], 0 offset:1708 ; 4-byte Folded Reload
	v_add_f64 v[12:13], v[110:111], -v[104:105]
	v_add_f64 v[14:15], v[108:109], -v[114:115]
	;; [unrolled: 1-line block ×6, first 2 shown]
	v_add_f64 v[32:33], v[60:61], v[104:105]
	v_add_f64 v[16:17], v[12:13], v[14:15]
	v_add_f64 v[12:13], v[102:103], -v[100:101]
	v_add_f64 v[14:15], v[106:107], -v[112:113]
	v_add_f64 v[32:33], v[32:33], v[110:111]
	v_add_f64 v[18:19], v[12:13], v[14:15]
	;; [unrolled: 1-line block ×4, first 2 shown]
	v_fma_f64 v[20:21], v[12:13], -0.5, v[60:61]
	v_fma_f64 v[26:27], v[14:15], -0.5, v[62:63]
	v_fma_f64 v[12:13], v[24:25], s[14:15], v[20:21]
	v_fma_f64 v[20:21], v[24:25], s[6:7], v[20:21]
	;; [unrolled: 1-line block ×10, first 2 shown]
	v_add_f64 v[20:21], v[110:111], v[108:109]
	v_fma_f64 v[14:15], v[18:19], s[12:13], v[14:15]
	v_fma_f64 v[18:19], v[18:19], s[12:13], v[26:27]
	v_add_f64 v[26:27], v[102:103], v[106:107]
	v_fma_f64 v[20:21], v[20:21], -0.5, v[60:61]
	v_fma_f64 v[26:27], v[26:27], -0.5, v[62:63]
	v_fma_f64 v[38:39], v[22:23], s[6:7], v[20:21]
	v_fma_f64 v[40:41], v[22:23], s[14:15], v[20:21]
	v_add_f64 v[20:21], v[34:35], v[102:103]
	v_add_f64 v[22:23], v[32:33], v[108:109]
	v_add_f64 v[34:35], v[114:115], -v[108:109]
	v_fma_f64 v[44:45], v[30:31], s[14:15], v[26:27]
	v_fma_f64 v[26:27], v[30:31], s[6:7], v[26:27]
	v_add_f64 v[32:33], v[20:21], v[106:107]
	v_add_f64 v[20:21], v[22:23], v[114:115]
	;; [unrolled: 1-line block ×3, first 2 shown]
	v_fma_f64 v[34:35], v[24:25], s[0:1], v[38:39]
	v_fma_f64 v[38:39], v[28:29], s[4:5], v[44:45]
	;; [unrolled: 1-line block ×4, first 2 shown]
	v_add_f64 v[22:23], v[32:33], v[112:113]
	v_add_f64 v[32:33], v[100:101], -v[102:103]
	v_fma_f64 v[24:25], v[30:31], s[12:13], v[34:35]
	v_add_f64 v[34:35], v[58:59], v[84:85]
	v_fma_f64 v[28:29], v[30:31], s[12:13], v[36:37]
	v_add_f64 v[36:37], v[88:89], -v[94:95]
	v_add_f64 v[32:33], v[32:33], v[42:43]
	v_add_f64 v[42:43], v[96:97], -v[90:91]
	v_fma_f64 v[26:27], v[32:33], s[12:13], v[38:39]
	v_fma_f64 v[30:31], v[32:33], s[12:13], v[40:41]
	s_waitcnt vmcnt(0)
	ds_write_b128 v0, v[20:23]
	ds_write_b128 v0, v[24:27] offset:1232
	ds_write_b128 v0, v[12:15] offset:2464
	;; [unrolled: 1-line block ×4, first 2 shown]
	buffer_load_dword v0, off, s[40:43], 0 offset:1704 ; 4-byte Folded Reload
	v_add_f64 v[12:13], v[94:95], -v[88:89]
	v_add_f64 v[14:15], v[92:93], -v[98:99]
	;; [unrolled: 1-line block ×6, first 2 shown]
	v_add_f64 v[32:33], v[56:57], v[88:89]
	v_add_f64 v[16:17], v[12:13], v[14:15]
	v_add_f64 v[12:13], v[86:87], -v[84:85]
	v_add_f64 v[14:15], v[90:91], -v[96:97]
	v_add_f64 v[32:33], v[32:33], v[94:95]
	v_add_f64 v[18:19], v[12:13], v[14:15]
	;; [unrolled: 1-line block ×4, first 2 shown]
	v_fma_f64 v[20:21], v[12:13], -0.5, v[56:57]
	v_fma_f64 v[26:27], v[14:15], -0.5, v[58:59]
	v_fma_f64 v[12:13], v[24:25], s[14:15], v[20:21]
	v_fma_f64 v[20:21], v[24:25], s[6:7], v[20:21]
	;; [unrolled: 1-line block ×10, first 2 shown]
	v_add_f64 v[20:21], v[94:95], v[92:93]
	v_fma_f64 v[14:15], v[18:19], s[12:13], v[14:15]
	v_fma_f64 v[18:19], v[18:19], s[12:13], v[26:27]
	v_add_f64 v[26:27], v[86:87], v[90:91]
	v_fma_f64 v[20:21], v[20:21], -0.5, v[56:57]
	v_fma_f64 v[26:27], v[26:27], -0.5, v[58:59]
	v_fma_f64 v[38:39], v[22:23], s[6:7], v[20:21]
	v_fma_f64 v[40:41], v[22:23], s[14:15], v[20:21]
	v_add_f64 v[20:21], v[34:35], v[86:87]
	v_add_f64 v[22:23], v[32:33], v[92:93]
	v_add_f64 v[34:35], v[98:99], -v[92:93]
	v_fma_f64 v[44:45], v[30:31], s[14:15], v[26:27]
	v_fma_f64 v[26:27], v[30:31], s[6:7], v[26:27]
	v_add_f64 v[32:33], v[20:21], v[90:91]
	v_add_f64 v[20:21], v[22:23], v[98:99]
	v_add_f64 v[30:31], v[36:37], v[34:35]
	v_fma_f64 v[34:35], v[24:25], s[0:1], v[38:39]
	v_fma_f64 v[38:39], v[28:29], s[4:5], v[44:45]
	;; [unrolled: 1-line block ×4, first 2 shown]
	v_add_f64 v[22:23], v[32:33], v[96:97]
	v_add_f64 v[32:33], v[84:85], -v[86:87]
	v_fma_f64 v[24:25], v[30:31], s[12:13], v[34:35]
	v_add_f64 v[34:35], v[54:55], v[68:69]
	v_fma_f64 v[28:29], v[30:31], s[12:13], v[36:37]
	v_add_f64 v[36:37], v[72:73], -v[78:79]
	v_add_f64 v[32:33], v[32:33], v[42:43]
	v_add_f64 v[42:43], v[80:81], -v[74:75]
	v_fma_f64 v[26:27], v[32:33], s[12:13], v[38:39]
	v_fma_f64 v[30:31], v[32:33], s[12:13], v[40:41]
	s_waitcnt vmcnt(0)
	ds_write_b128 v0, v[20:23]
	ds_write_b128 v0, v[24:27] offset:1232
	ds_write_b128 v0, v[12:15] offset:2464
	;; [unrolled: 1-line block ×4, first 2 shown]
	buffer_load_dword v0, off, s[40:43], 0 offset:1700 ; 4-byte Folded Reload
	v_add_f64 v[12:13], v[78:79], -v[72:73]
	v_add_f64 v[14:15], v[76:77], -v[82:83]
	;; [unrolled: 1-line block ×6, first 2 shown]
	v_add_f64 v[32:33], v[52:53], v[72:73]
	v_add_f64 v[16:17], v[12:13], v[14:15]
	v_add_f64 v[12:13], v[70:71], -v[68:69]
	v_add_f64 v[14:15], v[74:75], -v[80:81]
	v_add_f64 v[32:33], v[32:33], v[78:79]
	v_add_f64 v[18:19], v[12:13], v[14:15]
	;; [unrolled: 1-line block ×4, first 2 shown]
	v_fma_f64 v[20:21], v[12:13], -0.5, v[52:53]
	v_fma_f64 v[26:27], v[14:15], -0.5, v[54:55]
	v_fma_f64 v[12:13], v[24:25], s[14:15], v[20:21]
	v_fma_f64 v[20:21], v[24:25], s[6:7], v[20:21]
	v_fma_f64 v[14:15], v[28:29], s[6:7], v[26:27]
	v_fma_f64 v[26:27], v[28:29], s[14:15], v[26:27]
	v_fma_f64 v[12:13], v[22:23], s[0:1], v[12:13]
	v_fma_f64 v[20:21], v[22:23], s[4:5], v[20:21]
	v_fma_f64 v[14:15], v[30:31], s[4:5], v[14:15]
	v_fma_f64 v[26:27], v[30:31], s[0:1], v[26:27]
	v_fma_f64 v[12:13], v[16:17], s[12:13], v[12:13]
	v_fma_f64 v[16:17], v[16:17], s[12:13], v[20:21]
	v_add_f64 v[20:21], v[78:79], v[76:77]
	v_fma_f64 v[14:15], v[18:19], s[12:13], v[14:15]
	v_fma_f64 v[18:19], v[18:19], s[12:13], v[26:27]
	v_add_f64 v[26:27], v[70:71], v[74:75]
	v_fma_f64 v[20:21], v[20:21], -0.5, v[52:53]
	v_fma_f64 v[26:27], v[26:27], -0.5, v[54:55]
	v_fma_f64 v[38:39], v[22:23], s[6:7], v[20:21]
	v_fma_f64 v[40:41], v[22:23], s[14:15], v[20:21]
	v_add_f64 v[20:21], v[34:35], v[70:71]
	v_add_f64 v[22:23], v[32:33], v[76:77]
	v_add_f64 v[34:35], v[82:83], -v[76:77]
	v_fma_f64 v[44:45], v[30:31], s[14:15], v[26:27]
	v_fma_f64 v[26:27], v[30:31], s[6:7], v[26:27]
	v_add_f64 v[32:33], v[20:21], v[74:75]
	v_add_f64 v[20:21], v[22:23], v[82:83]
	;; [unrolled: 1-line block ×3, first 2 shown]
	v_fma_f64 v[34:35], v[24:25], s[0:1], v[38:39]
	v_fma_f64 v[38:39], v[28:29], s[4:5], v[44:45]
	;; [unrolled: 1-line block ×4, first 2 shown]
	v_add_f64 v[22:23], v[32:33], v[80:81]
	v_add_f64 v[32:33], v[68:69], -v[70:71]
	v_fma_f64 v[24:25], v[30:31], s[12:13], v[34:35]
	v_fma_f64 v[28:29], v[30:31], s[12:13], v[36:37]
	v_add_f64 v[32:33], v[32:33], v[42:43]
	v_fma_f64 v[26:27], v[32:33], s[12:13], v[38:39]
	v_fma_f64 v[30:31], v[32:33], s[12:13], v[40:41]
	s_waitcnt vmcnt(0)
	ds_write_b128 v0, v[20:23] offset:24640
	ds_write_b128 v0, v[24:27] offset:25872
	;; [unrolled: 1-line block ×5, first 2 shown]
	s_waitcnt lgkmcnt(0)
	s_barrier
	buffer_gl0_inv
	ds_read_b128 v[12:15], v230 offset:6160
	s_clause 0x3
	buffer_load_dword v0, off, s[40:43], 0 offset:1772
	buffer_load_dword v1, off, s[40:43], 0 offset:1776
	;; [unrolled: 1-line block ×4, first 2 shown]
	s_waitcnt vmcnt(0) lgkmcnt(0)
	v_mul_f64 v[16:17], v[2:3], v[14:15]
	v_fma_f64 v[16:17], v[0:1], v[12:13], v[16:17]
	v_mul_f64 v[12:13], v[2:3], v[12:13]
	v_fma_f64 v[20:21], v[0:1], v[14:15], -v[12:13]
	ds_read_b128 v[12:15], v230 offset:12320
	s_clause 0x3
	buffer_load_dword v0, off, s[40:43], 0 offset:1756
	buffer_load_dword v1, off, s[40:43], 0 offset:1760
	buffer_load_dword v2, off, s[40:43], 0 offset:1764
	buffer_load_dword v3, off, s[40:43], 0 offset:1768
	s_waitcnt vmcnt(0) lgkmcnt(0)
	v_mul_f64 v[18:19], v[2:3], v[14:15]
	v_fma_f64 v[18:19], v[0:1], v[12:13], v[18:19]
	v_mul_f64 v[12:13], v[2:3], v[12:13]
	v_add_f64 v[88:89], v[18:19], -v[16:17]
	v_fma_f64 v[22:23], v[0:1], v[14:15], -v[12:13]
	ds_read_b128 v[12:15], v230 offset:18480
	s_clause 0x3
	buffer_load_dword v0, off, s[40:43], 0 offset:1740
	buffer_load_dword v1, off, s[40:43], 0 offset:1744
	buffer_load_dword v2, off, s[40:43], 0 offset:1748
	buffer_load_dword v3, off, s[40:43], 0 offset:1752
	s_waitcnt vmcnt(0) lgkmcnt(0)
	v_mul_f64 v[24:25], v[2:3], v[14:15]
	v_fma_f64 v[24:25], v[0:1], v[12:13], v[24:25]
	v_mul_f64 v[12:13], v[2:3], v[12:13]
	v_add_f64 v[70:71], v[18:19], -v[24:25]
	;; [unrolled: 12-line block ×3, first 2 shown]
	v_fma_f64 v[30:31], v[0:1], v[14:15], -v[12:13]
	ds_read_b128 v[12:15], v230 offset:7040
	s_clause 0x3
	buffer_load_dword v0, off, s[40:43], 0 offset:1836
	buffer_load_dword v1, off, s[40:43], 0 offset:1840
	buffer_load_dword v2, off, s[40:43], 0 offset:1844
	buffer_load_dword v3, off, s[40:43], 0 offset:1848
	s_waitcnt vmcnt(0) lgkmcnt(0)
	v_mul_f64 v[32:33], v[2:3], v[14:15]
	v_fma_f64 v[32:33], v[0:1], v[12:13], v[32:33]
	v_mul_f64 v[12:13], v[2:3], v[12:13]
	v_fma_f64 v[34:35], v[0:1], v[14:15], -v[12:13]
	ds_read_b128 v[12:15], v230 offset:13200
	s_clause 0x3
	buffer_load_dword v0, off, s[40:43], 0 offset:1820
	buffer_load_dword v1, off, s[40:43], 0 offset:1824
	buffer_load_dword v2, off, s[40:43], 0 offset:1828
	buffer_load_dword v3, off, s[40:43], 0 offset:1832
	s_waitcnt vmcnt(0) lgkmcnt(0)
	v_mul_f64 v[36:37], v[2:3], v[14:15]
	v_fma_f64 v[36:37], v[0:1], v[12:13], v[36:37]
	v_mul_f64 v[12:13], v[2:3], v[12:13]
	;; [unrolled: 11-line block ×7, first 2 shown]
	v_add_f64 v[110:111], v[56:57], -v[58:59]
	v_fma_f64 v[62:63], v[0:1], v[14:15], -v[12:13]
	ds_read_b128 v[12:15], v230 offset:26400
	s_clause 0x3
	buffer_load_dword v0, off, s[40:43], 0 offset:1852
	buffer_load_dword v1, off, s[40:43], 0 offset:1856
	buffer_load_dword v2, off, s[40:43], 0 offset:1860
	buffer_load_dword v3, off, s[40:43], 0 offset:1864
	s_waitcnt vmcnt(0) lgkmcnt(0)
	v_mul_f64 v[48:49], v[2:3], v[14:15]
	v_fma_f64 v[64:65], v[0:1], v[12:13], v[48:49]
	v_mul_f64 v[12:13], v[2:3], v[12:13]
	v_fma_f64 v[66:67], v[0:1], v[14:15], -v[12:13]
	ds_read_b128 v[12:15], v230 offset:8800
	s_clause 0x3
	buffer_load_dword v0, off, s[40:43], 0 offset:4
	buffer_load_dword v1, off, s[40:43], 0 offset:8
	buffer_load_dword v2, off, s[40:43], 0 offset:12
	buffer_load_dword v3, off, s[40:43], 0 offset:16
	s_waitcnt vmcnt(0) lgkmcnt(0)
	v_mul_f64 v[48:49], v[2:3], v[14:15]
	v_fma_f64 v[72:73], v[0:1], v[12:13], v[48:49]
	v_mul_f64 v[12:13], v[2:3], v[12:13]
	v_fma_f64 v[74:75], v[0:1], v[14:15], -v[12:13]
	ds_read_b128 v[12:15], v230 offset:14960
	s_clause 0x3
	buffer_load_dword v0, off, s[40:43], 0 offset:1948
	buffer_load_dword v1, off, s[40:43], 0 offset:1952
	buffer_load_dword v2, off, s[40:43], 0 offset:1956
	buffer_load_dword v3, off, s[40:43], 0 offset:1960
	s_waitcnt vmcnt(0) lgkmcnt(0)
	v_mul_f64 v[48:49], v[2:3], v[14:15]
	v_fma_f64 v[76:77], v[0:1], v[12:13], v[48:49]
	v_mul_f64 v[12:13], v[2:3], v[12:13]
	v_fma_f64 v[80:81], v[0:1], v[14:15], -v[12:13]
	ds_read_b128 v[12:15], v230 offset:21120
	s_clause 0x3
	buffer_load_dword v0, off, s[40:43], 0 offset:1932
	buffer_load_dword v1, off, s[40:43], 0 offset:1936
	buffer_load_dword v2, off, s[40:43], 0 offset:1940
	buffer_load_dword v3, off, s[40:43], 0 offset:1944
	s_waitcnt vmcnt(0) lgkmcnt(0)
	v_mul_f64 v[48:49], v[2:3], v[14:15]
	v_fma_f64 v[78:79], v[0:1], v[12:13], v[48:49]
	v_mul_f64 v[12:13], v[2:3], v[12:13]
	v_add_f64 v[146:147], v[76:77], -v[78:79]
	v_fma_f64 v[82:83], v[0:1], v[14:15], -v[12:13]
	ds_read_b128 v[12:15], v230 offset:27280
	s_clause 0x3
	buffer_load_dword v0, off, s[40:43], 0 offset:1916
	buffer_load_dword v1, off, s[40:43], 0 offset:1920
	buffer_load_dword v2, off, s[40:43], 0 offset:1924
	buffer_load_dword v3, off, s[40:43], 0 offset:1928
	s_waitcnt vmcnt(0) lgkmcnt(0)
	v_mul_f64 v[48:49], v[2:3], v[14:15]
	v_fma_f64 v[84:85], v[0:1], v[12:13], v[48:49]
	v_mul_f64 v[12:13], v[2:3], v[12:13]
	v_fma_f64 v[86:87], v[0:1], v[14:15], -v[12:13]
	ds_read_b128 v[12:15], v230 offset:9680
	s_clause 0x3
	buffer_load_dword v0, off, s[40:43], 0 offset:2012
	buffer_load_dword v1, off, s[40:43], 0 offset:2016
	buffer_load_dword v2, off, s[40:43], 0 offset:2020
	buffer_load_dword v3, off, s[40:43], 0 offset:2024
	s_waitcnt vmcnt(0) lgkmcnt(0)
	v_mul_f64 v[48:49], v[2:3], v[14:15]
	v_fma_f64 v[92:93], v[0:1], v[12:13], v[48:49]
	v_mul_f64 v[12:13], v[2:3], v[12:13]
	;; [unrolled: 11-line block ×4, first 2 shown]
	v_add_f64 v[150:151], v[96:97], -v[98:99]
	v_fma_f64 v[102:103], v[0:1], v[14:15], -v[12:13]
	ds_read_b128 v[12:15], v230 offset:28160
	s_clause 0x3
	buffer_load_dword v0, off, s[40:43], 0 offset:1964
	buffer_load_dword v1, off, s[40:43], 0 offset:1968
	buffer_load_dword v2, off, s[40:43], 0 offset:1972
	buffer_load_dword v3, off, s[40:43], 0 offset:1976
	s_waitcnt vmcnt(0) lgkmcnt(0)
	v_mul_f64 v[48:49], v[2:3], v[14:15]
	v_fma_f64 v[104:105], v[0:1], v[12:13], v[48:49]
	v_mul_f64 v[12:13], v[2:3], v[12:13]
	v_fma_f64 v[106:107], v[0:1], v[14:15], -v[12:13]
	ds_read_b128 v[12:15], v230 offset:10560
	s_clause 0x3
	buffer_load_dword v0, off, s[40:43], 0 offset:2060
	buffer_load_dword v1, off, s[40:43], 0 offset:2064
	buffer_load_dword v2, off, s[40:43], 0 offset:2068
	buffer_load_dword v3, off, s[40:43], 0 offset:2072
	s_waitcnt vmcnt(0) lgkmcnt(0)
	v_mul_f64 v[48:49], v[2:3], v[14:15]
	v_fma_f64 v[112:113], v[0:1], v[12:13], v[48:49]
	v_mul_f64 v[12:13], v[2:3], v[12:13]
	;; [unrolled: 11-line block ×3, first 2 shown]
	v_add_f64 v[156:157], v[114:115], -v[112:113]
	v_fma_f64 v[118:119], v[0:1], v[14:15], -v[12:13]
	ds_read_b128 v[12:15], v230 offset:22880
	s_clause 0x3
	buffer_load_dword v0, off, s[40:43], 0 offset:2044
	buffer_load_dword v1, off, s[40:43], 0 offset:2048
	buffer_load_dword v2, off, s[40:43], 0 offset:2052
	buffer_load_dword v3, off, s[40:43], 0 offset:2056
	s_waitcnt vmcnt(0) lgkmcnt(0)
	v_mul_f64 v[48:49], v[2:3], v[14:15]
	v_fma_f64 v[120:121], v[0:1], v[12:13], v[48:49]
	v_mul_f64 v[12:13], v[2:3], v[12:13]
	v_add_f64 v[154:155], v[114:115], -v[120:121]
	v_fma_f64 v[122:123], v[0:1], v[14:15], -v[12:13]
	ds_read_b128 v[12:15], v230 offset:29040
	s_clause 0x3
	buffer_load_dword v0, off, s[40:43], 0 offset:2028
	buffer_load_dword v1, off, s[40:43], 0 offset:2032
	;; [unrolled: 1-line block ×4, first 2 shown]
	s_waitcnt vmcnt(0) lgkmcnt(0)
	v_mul_f64 v[48:49], v[2:3], v[14:15]
	v_fma_f64 v[140:141], v[0:1], v[12:13], v[48:49]
	v_mul_f64 v[12:13], v[2:3], v[12:13]
	v_fma_f64 v[142:143], v[0:1], v[14:15], -v[12:13]
	ds_read_b128 v[12:15], v230 offset:11440
	s_clause 0x3
	buffer_load_dword v0, off, s[40:43], 0 offset:2140
	buffer_load_dword v1, off, s[40:43], 0 offset:2144
	buffer_load_dword v2, off, s[40:43], 0 offset:2148
	buffer_load_dword v3, off, s[40:43], 0 offset:2152
	s_waitcnt vmcnt(0) lgkmcnt(0)
	v_mul_f64 v[48:49], v[2:3], v[14:15]
	v_mul_f64 v[10:11], v[2:3], v[12:13]
	v_fma_f64 v[128:129], v[0:1], v[12:13], v[48:49]
	v_fma_f64 v[124:125], v[0:1], v[14:15], -v[10:11]
	ds_read_b128 v[8:11], v230 offset:17600
	s_clause 0x3
	buffer_load_dword v0, off, s[40:43], 0 offset:2124
	buffer_load_dword v1, off, s[40:43], 0 offset:2128
	;; [unrolled: 1-line block ×4, first 2 shown]
	v_add_f64 v[14:15], v[20:21], -v[30:31]
	v_add_f64 v[48:49], v[22:23], -v[26:27]
	s_waitcnt vmcnt(0) lgkmcnt(0)
	v_mul_f64 v[12:13], v[2:3], v[10:11]
	v_mul_f64 v[6:7], v[2:3], v[8:9]
	v_fma_f64 v[134:135], v[0:1], v[8:9], v[12:13]
	v_fma_f64 v[126:127], v[0:1], v[10:11], -v[6:7]
	ds_read_b128 v[4:7], v230 offset:23760
	s_clause 0x3
	buffer_load_dword v0, off, s[40:43], 0 offset:2108
	buffer_load_dword v1, off, s[40:43], 0 offset:2112
	;; [unrolled: 1-line block ×4, first 2 shown]
	s_waitcnt vmcnt(0) lgkmcnt(0)
	v_mul_f64 v[8:9], v[2:3], v[6:7]
	v_mul_f64 v[2:3], v[2:3], v[4:5]
	v_fma_f64 v[132:133], v[0:1], v[4:5], v[8:9]
	v_fma_f64 v[130:131], v[0:1], v[6:7], -v[2:3]
	ds_read_b128 v[0:3], v230 offset:29920
	s_clause 0x3
	buffer_load_dword v6, off, s[40:43], 0 offset:2092
	buffer_load_dword v7, off, s[40:43], 0 offset:2096
	;; [unrolled: 1-line block ×4, first 2 shown]
	s_waitcnt vmcnt(0) lgkmcnt(0)
	v_mul_f64 v[4:5], v[8:9], v[2:3]
	v_fma_f64 v[138:139], v[6:7], v[0:1], v[4:5]
	v_mul_f64 v[0:1], v[8:9], v[0:1]
	v_add_f64 v[4:5], v[30:31], -v[26:27]
	ds_read_b128 v[8:11], v230
	v_fma_f64 v[136:137], v[6:7], v[2:3], -v[0:1]
	v_add_f64 v[0:1], v[16:17], -v[18:19]
	v_add_f64 v[2:3], v[28:29], -v[24:25]
	v_add_f64 v[6:7], v[22:23], v[26:27]
	v_add_f64 v[0:1], v[0:1], v[2:3]
	v_add_f64 v[2:3], v[20:21], -v[22:23]
	s_waitcnt lgkmcnt(0)
	v_fma_f64 v[50:51], v[6:7], -0.5, v[10:11]
	v_add_f64 v[2:3], v[2:3], v[4:5]
	v_add_f64 v[4:5], v[18:19], v[24:25]
	v_fma_f64 v[6:7], v[68:69], s[14:15], v[50:51]
	v_fma_f64 v[50:51], v[68:69], s[6:7], v[50:51]
	v_fma_f64 v[12:13], v[4:5], -0.5, v[8:9]
	v_fma_f64 v[6:7], v[70:71], s[4:5], v[6:7]
	v_fma_f64 v[50:51], v[70:71], s[0:1], v[50:51]
	;; [unrolled: 1-line block ×6, first 2 shown]
	v_add_f64 v[50:51], v[20:21], v[30:31]
	v_fma_f64 v[4:5], v[48:49], s[0:1], v[4:5]
	v_fma_f64 v[12:13], v[48:49], s[4:5], v[12:13]
	v_fma_f64 v[50:51], v[50:51], -0.5, v[10:11]
	v_add_f64 v[10:11], v[10:11], v[20:21]
	v_fma_f64 v[4:5], v[0:1], s[12:13], v[4:5]
	v_fma_f64 v[0:1], v[0:1], s[12:13], v[12:13]
	v_add_f64 v[12:13], v[16:17], v[28:29]
	v_add_f64 v[10:11], v[10:11], v[22:23]
	v_fma_f64 v[12:13], v[12:13], -0.5, v[8:9]
	v_add_f64 v[8:9], v[8:9], v[16:17]
	v_add_f64 v[10:11], v[10:11], v[26:27]
	v_fma_f64 v[90:91], v[48:49], s[14:15], v[12:13]
	v_add_f64 v[8:9], v[8:9], v[18:19]
	v_fma_f64 v[12:13], v[48:49], s[6:7], v[12:13]
	v_add_f64 v[18:19], v[10:11], v[30:31]
	v_add_f64 v[10:11], v[26:27], -v[30:31]
	v_fma_f64 v[26:27], v[14:15], s[0:1], v[90:91]
	v_add_f64 v[8:9], v[8:9], v[24:25]
	v_add_f64 v[24:25], v[24:25], -v[28:29]
	v_fma_f64 v[12:13], v[14:15], s[4:5], v[12:13]
	v_add_f64 v[90:91], v[36:37], -v[38:39]
	v_add_f64 v[16:17], v[8:9], v[28:29]
	v_add_f64 v[8:9], v[22:23], -v[20:21]
	v_fma_f64 v[20:21], v[70:71], s[6:7], v[50:51]
	v_fma_f64 v[22:23], v[70:71], s[14:15], v[50:51]
	v_add_f64 v[24:25], v[88:89], v[24:25]
	ds_read_b128 v[28:31], v230 offset:880
	v_add_f64 v[50:51], v[34:35], -v[46:47]
	v_add_f64 v[88:89], v[32:33], -v[44:45]
	v_add_f64 v[8:9], v[8:9], v[10:11]
	v_fma_f64 v[10:11], v[68:69], s[4:5], v[20:21]
	v_fma_f64 v[14:15], v[68:69], s[0:1], v[22:23]
	;; [unrolled: 1-line block ×4, first 2 shown]
	v_add_f64 v[24:25], v[46:47], -v[42:43]
	v_add_f64 v[26:27], v[40:41], v[42:43]
	v_add_f64 v[68:69], v[40:41], -v[42:43]
	v_fma_f64 v[22:23], v[8:9], s[12:13], v[10:11]
	v_fma_f64 v[14:15], v[8:9], s[12:13], v[14:15]
	v_add_f64 v[8:9], v[32:33], -v[36:37]
	v_add_f64 v[10:11], v[44:45], -v[38:39]
	s_waitcnt lgkmcnt(0)
	v_fma_f64 v[70:71], v[26:27], -0.5, v[30:31]
	v_add_f64 v[8:9], v[8:9], v[10:11]
	v_add_f64 v[10:11], v[34:35], -v[40:41]
	v_fma_f64 v[26:27], v[88:89], s[14:15], v[70:71]
	v_fma_f64 v[70:71], v[88:89], s[6:7], v[70:71]
	v_add_f64 v[10:11], v[10:11], v[24:25]
	v_add_f64 v[24:25], v[36:37], v[38:39]
	v_fma_f64 v[26:27], v[90:91], s[4:5], v[26:27]
	v_fma_f64 v[70:71], v[90:91], s[0:1], v[70:71]
	v_fma_f64 v[48:49], v[24:25], -0.5, v[28:29]
	v_fma_f64 v[26:27], v[10:11], s[12:13], v[26:27]
	v_fma_f64 v[10:11], v[10:11], s[12:13], v[70:71]
	v_add_f64 v[70:71], v[34:35], v[46:47]
	v_fma_f64 v[24:25], v[50:51], s[6:7], v[48:49]
	v_fma_f64 v[48:49], v[50:51], s[14:15], v[48:49]
	v_fma_f64 v[70:71], v[70:71], -0.5, v[30:31]
	v_add_f64 v[30:31], v[30:31], v[34:35]
	v_fma_f64 v[24:25], v[68:69], s[0:1], v[24:25]
	v_fma_f64 v[48:49], v[68:69], s[4:5], v[48:49]
	v_add_f64 v[30:31], v[30:31], v[40:41]
	v_fma_f64 v[24:25], v[8:9], s[12:13], v[24:25]
	v_fma_f64 v[8:9], v[8:9], s[12:13], v[48:49]
	v_add_f64 v[48:49], v[32:33], v[44:45]
	v_add_f64 v[30:31], v[30:31], v[42:43]
	v_fma_f64 v[48:49], v[48:49], -0.5, v[28:29]
	v_add_f64 v[28:29], v[28:29], v[32:33]
	v_add_f64 v[32:33], v[36:37], -v[32:33]
	v_fma_f64 v[108:109], v[68:69], s[14:15], v[48:49]
	v_add_f64 v[28:29], v[28:29], v[36:37]
	v_fma_f64 v[48:49], v[68:69], s[6:7], v[48:49]
	v_add_f64 v[68:69], v[38:39], -v[44:45]
	v_add_f64 v[28:29], v[28:29], v[38:39]
	v_add_f64 v[38:39], v[30:31], v[46:47]
	v_add_f64 v[30:31], v[42:43], -v[46:47]
	v_add_f64 v[32:33], v[32:33], v[68:69]
	v_fma_f64 v[42:43], v[50:51], s[0:1], v[108:109]
	v_add_f64 v[46:47], v[60:61], v[62:63]
	v_add_f64 v[108:109], v[52:53], -v[64:65]
	v_add_f64 v[36:37], v[28:29], v[44:45]
	v_add_f64 v[28:29], v[40:41], -v[34:35]
	v_fma_f64 v[34:35], v[90:91], s[6:7], v[70:71]
	v_fma_f64 v[40:41], v[90:91], s[14:15], v[70:71]
	v_fma_f64 v[44:45], v[50:51], s[4:5], v[48:49]
	ds_read_b128 v[48:51], v230 offset:1760
	v_add_f64 v[70:71], v[54:55], -v[66:67]
	v_add_f64 v[28:29], v[28:29], v[30:31]
	v_fma_f64 v[30:31], v[88:89], s[4:5], v[34:35]
	v_fma_f64 v[34:35], v[88:89], s[0:1], v[40:41]
	v_fma_f64 v[40:41], v[32:33], s[12:13], v[42:43]
	v_fma_f64 v[32:33], v[32:33], s[12:13], v[44:45]
	v_add_f64 v[44:45], v[66:67], -v[62:63]
	s_waitcnt lgkmcnt(0)
	v_fma_f64 v[90:91], v[46:47], -0.5, v[50:51]
	v_add_f64 v[88:89], v[60:61], -v[62:63]
	v_fma_f64 v[42:43], v[28:29], s[12:13], v[30:31]
	v_fma_f64 v[34:35], v[28:29], s[12:13], v[34:35]
	v_add_f64 v[28:29], v[52:53], -v[56:57]
	v_add_f64 v[30:31], v[64:65], -v[58:59]
	v_fma_f64 v[46:47], v[108:109], s[14:15], v[90:91]
	v_fma_f64 v[90:91], v[108:109], s[6:7], v[90:91]
	v_add_f64 v[28:29], v[28:29], v[30:31]
	v_add_f64 v[30:31], v[54:55], -v[60:61]
	v_fma_f64 v[46:47], v[110:111], s[4:5], v[46:47]
	v_fma_f64 v[90:91], v[110:111], s[0:1], v[90:91]
	v_add_f64 v[30:31], v[30:31], v[44:45]
	v_add_f64 v[44:45], v[56:57], v[58:59]
	v_fma_f64 v[46:47], v[30:31], s[12:13], v[46:47]
	v_fma_f64 v[68:69], v[44:45], -0.5, v[48:49]
	v_fma_f64 v[30:31], v[30:31], s[12:13], v[90:91]
	v_add_f64 v[90:91], v[54:55], v[66:67]
	v_fma_f64 v[44:45], v[70:71], s[6:7], v[68:69]
	v_fma_f64 v[68:69], v[70:71], s[14:15], v[68:69]
	v_fma_f64 v[90:91], v[90:91], -0.5, v[50:51]
	v_add_f64 v[50:51], v[50:51], v[54:55]
	v_fma_f64 v[44:45], v[88:89], s[0:1], v[44:45]
	v_fma_f64 v[68:69], v[88:89], s[4:5], v[68:69]
	v_add_f64 v[50:51], v[50:51], v[60:61]
	v_fma_f64 v[44:45], v[28:29], s[12:13], v[44:45]
	v_fma_f64 v[28:29], v[28:29], s[12:13], v[68:69]
	v_add_f64 v[68:69], v[52:53], v[64:65]
	v_add_f64 v[50:51], v[50:51], v[62:63]
	v_fma_f64 v[68:69], v[68:69], -0.5, v[48:49]
	v_add_f64 v[48:49], v[48:49], v[52:53]
	v_add_f64 v[52:53], v[56:57], -v[52:53]
	v_fma_f64 v[144:145], v[88:89], s[14:15], v[68:69]
	v_add_f64 v[48:49], v[48:49], v[56:57]
	v_fma_f64 v[68:69], v[88:89], s[6:7], v[68:69]
	v_add_f64 v[88:89], v[58:59], -v[64:65]
	v_add_f64 v[48:49], v[48:49], v[58:59]
	v_add_f64 v[58:59], v[50:51], v[66:67]
	v_add_f64 v[50:51], v[62:63], -v[66:67]
	v_add_f64 v[52:53], v[52:53], v[88:89]
	v_fma_f64 v[62:63], v[70:71], s[0:1], v[144:145]
	v_add_f64 v[66:67], v[80:81], v[82:83]
	v_add_f64 v[144:145], v[72:73], -v[84:85]
	v_add_f64 v[56:57], v[48:49], v[64:65]
	v_add_f64 v[48:49], v[60:61], -v[54:55]
	v_fma_f64 v[54:55], v[110:111], s[6:7], v[90:91]
	v_fma_f64 v[60:61], v[110:111], s[14:15], v[90:91]
	v_fma_f64 v[64:65], v[70:71], s[4:5], v[68:69]
	ds_read_b128 v[68:71], v230 offset:2640
	v_add_f64 v[90:91], v[74:75], -v[86:87]
	v_add_f64 v[48:49], v[48:49], v[50:51]
	v_fma_f64 v[50:51], v[108:109], s[4:5], v[54:55]
	v_fma_f64 v[54:55], v[108:109], s[0:1], v[60:61]
	v_fma_f64 v[60:61], v[52:53], s[12:13], v[62:63]
	v_fma_f64 v[52:53], v[52:53], s[12:13], v[64:65]
	v_add_f64 v[64:65], v[86:87], -v[82:83]
	s_waitcnt lgkmcnt(0)
	v_fma_f64 v[110:111], v[66:67], -0.5, v[70:71]
	v_add_f64 v[108:109], v[80:81], -v[82:83]
	v_fma_f64 v[62:63], v[48:49], s[12:13], v[50:51]
	v_fma_f64 v[54:55], v[48:49], s[12:13], v[54:55]
	v_add_f64 v[48:49], v[72:73], -v[76:77]
	v_add_f64 v[50:51], v[84:85], -v[78:79]
	v_fma_f64 v[66:67], v[144:145], s[14:15], v[110:111]
	v_fma_f64 v[110:111], v[144:145], s[6:7], v[110:111]
	v_add_f64 v[48:49], v[48:49], v[50:51]
	v_add_f64 v[50:51], v[74:75], -v[80:81]
	v_fma_f64 v[66:67], v[146:147], s[4:5], v[66:67]
	v_fma_f64 v[110:111], v[146:147], s[0:1], v[110:111]
	v_add_f64 v[50:51], v[50:51], v[64:65]
	v_add_f64 v[64:65], v[76:77], v[78:79]
	v_fma_f64 v[66:67], v[50:51], s[12:13], v[66:67]
	v_fma_f64 v[88:89], v[64:65], -0.5, v[68:69]
	;; [unrolled: 57-line block ×4, first 2 shown]
	v_fma_f64 v[90:91], v[90:91], s[12:13], v[150:151]
	v_add_f64 v[150:151], v[116:117], v[142:143]
	v_fma_f64 v[104:105], v[146:147], s[6:7], v[144:145]
	v_fma_f64 v[144:145], v[146:147], s[14:15], v[144:145]
	v_fma_f64 v[150:151], v[150:151], -0.5, v[110:111]
	v_add_f64 v[110:111], v[110:111], v[116:117]
	v_fma_f64 v[104:105], v[148:149], s[0:1], v[104:105]
	v_fma_f64 v[144:145], v[148:149], s[4:5], v[144:145]
	v_add_f64 v[110:111], v[110:111], v[118:119]
	v_fma_f64 v[104:105], v[88:89], s[12:13], v[104:105]
	v_fma_f64 v[88:89], v[88:89], s[12:13], v[144:145]
	v_add_f64 v[144:145], v[112:113], v[140:141]
	v_add_f64 v[110:111], v[110:111], v[122:123]
	v_fma_f64 v[144:145], v[144:145], -0.5, v[108:109]
	v_add_f64 v[108:109], v[108:109], v[112:113]
	v_fma_f64 v[158:159], v[148:149], s[14:15], v[144:145]
	v_add_f64 v[108:109], v[108:109], v[114:115]
	v_fma_f64 v[144:145], v[148:149], s[6:7], v[144:145]
	v_add_f64 v[114:115], v[110:111], v[142:143]
	v_add_f64 v[110:111], v[122:123], -v[142:143]
	v_fma_f64 v[122:123], v[146:147], s[0:1], v[158:159]
	v_add_f64 v[108:109], v[108:109], v[120:121]
	v_add_f64 v[120:121], v[120:121], -v[140:141]
	v_add_f64 v[158:159], v[134:135], -v[132:133]
	v_add_f64 v[112:113], v[108:109], v[140:141]
	v_add_f64 v[108:109], v[118:119], -v[116:117]
	v_fma_f64 v[116:117], v[154:155], s[6:7], v[150:151]
	v_fma_f64 v[118:119], v[154:155], s[14:15], v[150:151]
	v_add_f64 v[120:121], v[156:157], v[120:121]
	v_fma_f64 v[140:141], v[146:147], s[4:5], v[144:145]
	v_add_f64 v[146:147], v[126:127], v[130:131]
	v_add_f64 v[144:145], v[134:135], v[132:133]
	v_add_f64 v[156:157], v[128:129], -v[138:139]
	v_add_f64 v[150:151], v[124:125], -v[136:137]
	v_add_f64 v[110:111], v[108:109], v[110:111]
	v_fma_f64 v[108:109], v[152:153], s[4:5], v[116:117]
	v_fma_f64 v[142:143], v[152:153], s[0:1], v[118:119]
	;; [unrolled: 1-line block ×3, first 2 shown]
	v_add_f64 v[122:123], v[138:139], -v[132:133]
	v_add_f64 v[152:153], v[126:127], -v[130:131]
	v_fma_f64 v[118:119], v[110:111], s[12:13], v[108:109]
	v_fma_f64 v[108:109], v[120:121], s[12:13], v[140:141]
	v_add_f64 v[120:121], v[128:129], -v[134:135]
	v_fma_f64 v[110:111], v[110:111], s[12:13], v[142:143]
	v_add_f64 v[140:141], v[120:121], v[122:123]
	v_add_f64 v[120:121], v[124:125], -v[126:127]
	v_add_f64 v[122:123], v[136:137], -v[130:131]
	v_add_f64 v[142:143], v[120:121], v[122:123]
	ds_read_b128 v[120:123], v230 offset:5280
	s_waitcnt lgkmcnt(0)
	v_fma_f64 v[154:155], v[146:147], -0.5, v[122:123]
	v_fma_f64 v[148:149], v[144:145], -0.5, v[120:121]
	v_fma_f64 v[146:147], v[156:157], s[14:15], v[154:155]
	v_fma_f64 v[154:155], v[156:157], s[6:7], v[154:155]
	;; [unrolled: 1-line block ×10, first 2 shown]
	v_add_f64 v[154:155], v[124:125], v[136:137]
	v_fma_f64 v[144:145], v[140:141], s[12:13], v[144:145]
	v_fma_f64 v[140:141], v[140:141], s[12:13], v[148:149]
	v_add_f64 v[148:149], v[128:129], v[138:139]
	v_fma_f64 v[154:155], v[154:155], -0.5, v[122:123]
	v_add_f64 v[122:123], v[122:123], v[124:125]
	v_add_f64 v[124:125], v[126:127], -v[124:125]
	v_fma_f64 v[148:149], v[148:149], -0.5, v[120:121]
	v_add_f64 v[120:121], v[120:121], v[128:129]
	v_add_f64 v[128:129], v[134:135], -v[128:129]
	v_add_f64 v[122:123], v[122:123], v[126:127]
	v_add_f64 v[126:127], v[130:131], -v[136:137]
	v_add_f64 v[120:121], v[120:121], v[134:135]
	v_fma_f64 v[134:135], v[152:153], s[14:15], v[148:149]
	v_fma_f64 v[148:149], v[152:153], s[6:7], v[148:149]
	v_add_f64 v[122:123], v[122:123], v[130:131]
	v_fma_f64 v[130:131], v[158:159], s[6:7], v[154:155]
	v_add_f64 v[120:121], v[120:121], v[132:133]
	v_add_f64 v[132:133], v[132:133], -v[138:139]
	v_add_f64 v[122:123], v[122:123], v[136:137]
	v_fma_f64 v[136:137], v[158:159], s[14:15], v[154:155]
	v_add_f64 v[120:121], v[120:121], v[138:139]
	v_add_f64 v[128:129], v[128:129], v[132:133]
	v_fma_f64 v[132:133], v[150:151], s[0:1], v[134:135]
	v_fma_f64 v[134:135], v[150:151], s[4:5], v[148:149]
	v_add_f64 v[138:139], v[124:125], v[126:127]
	v_fma_f64 v[126:127], v[156:157], s[4:5], v[130:131]
	s_mul_hi_u32 s4, s8, 0xffff9c50
	s_mul_i32 s5, s9, 0xffff9c50
	s_sub_i32 s4, s4, s8
	s_add_i32 s4, s4, s5
	s_mul_i32 s5, s8, 0xffff9c50
	v_fma_f64 v[130:131], v[156:157], s[0:1], v[136:137]
	s_mov_b32 s0, 0xebc93598
	s_mov_b32 s1, 0x3f4105b7
	v_fma_f64 v[124:125], v[128:129], s[12:13], v[132:133]
	v_fma_f64 v[128:129], v[128:129], s[12:13], v[134:135]
	;; [unrolled: 1-line block ×4, first 2 shown]
	ds_write_b128 v230, v[16:19]
	ds_write_b128 v230, v[4:7] offset:6160
	ds_write_b128 v230, v[20:23] offset:12320
	ds_write_b128 v230, v[12:15] offset:18480
	ds_write_b128 v230, v[0:3] offset:24640
	ds_write_b128 v230, v[36:39] offset:880
	ds_write_b128 v230, v[24:27] offset:7040
	ds_write_b128 v230, v[40:43] offset:13200
	ds_write_b128 v230, v[32:35] offset:19360
	ds_write_b128 v230, v[8:11] offset:25520
	ds_write_b128 v230, v[56:59] offset:1760
	ds_write_b128 v230, v[44:47] offset:7920
	ds_write_b128 v230, v[60:63] offset:14080
	ds_write_b128 v230, v[52:55] offset:20240
	ds_write_b128 v230, v[28:31] offset:26400
	ds_write_b128 v230, v[76:79] offset:2640
	ds_write_b128 v230, v[64:67] offset:8800
	ds_write_b128 v230, v[80:83] offset:14960
	ds_write_b128 v230, v[72:75] offset:21120
	ds_write_b128 v230, v[48:51] offset:27280
	ds_write_b128 v230, v[96:99] offset:3520
	ds_write_b128 v230, v[84:87] offset:9680
	ds_write_b128 v230, v[100:103] offset:15840
	ds_write_b128 v230, v[92:95] offset:22000
	ds_write_b128 v230, v[68:71] offset:28160
	ds_write_b128 v230, v[112:115] offset:4400
	ds_write_b128 v230, v[104:107] offset:10560
	ds_write_b128 v230, v[116:119] offset:16720
	ds_write_b128 v230, v[108:111] offset:22880
	ds_write_b128 v230, v[88:91] offset:29040
	ds_write_b128 v230, v[120:123] offset:5280
	ds_write_b128 v230, v[144:147] offset:11440
	ds_write_b128 v230, v[124:127] offset:17600
	ds_write_b128 v230, v[128:131] offset:23760
	ds_write_b128 v230, v[140:143] offset:29920
	s_waitcnt lgkmcnt(0)
	s_barrier
	buffer_gl0_inv
	ds_read_b128 v[0:3], v230
	s_clause 0x3
	buffer_load_dword v16, off, s[40:43], 0 offset:332
	buffer_load_dword v17, off, s[40:43], 0 offset:336
	;; [unrolled: 1-line block ×4, first 2 shown]
	ds_read_b128 v[4:7], v230 offset:4400
	s_clause 0x6
	buffer_load_dword v12, off, s[40:43], 0 offset:324
	buffer_load_dword v13, off, s[40:43], 0 offset:328
	buffer_load_dword v27, off, s[40:43], 0
	buffer_load_dword v53, off, s[40:43], 0 offset:308
	buffer_load_dword v54, off, s[40:43], 0 offset:312
	;; [unrolled: 1-line block ×4, first 2 shown]
	ds_read_b128 v[31:34], v230 offset:17600
	ds_read_b128 v[23:26], v230 offset:3520
	s_waitcnt vmcnt(7) lgkmcnt(3)
	v_mul_f64 v[8:9], v[18:19], v[2:3]
	v_mul_f64 v[10:11], v[18:19], v[0:1]
	s_waitcnt vmcnt(6)
	v_mov_b32_e32 v18, v12
	s_waitcnt vmcnt(0) lgkmcnt(2)
	v_mul_f64 v[43:44], v[55:56], v[4:5]
	v_mad_u64_u32 v[12:13], null, s10, v18, 0
	v_fma_f64 v[14:15], v[16:17], v[0:1], v[8:9]
	v_fma_f64 v[16:17], v[16:17], v[2:3], -v[10:11]
	v_mul_f64 v[10:11], v[55:56], v[6:7]
	v_mad_u64_u32 v[8:9], null, s8, v27, 0
	ds_read_b128 v[0:3], v230 offset:8800
	v_mad_u64_u32 v[18:19], null, s11, v18, v[13:14]
	v_mad_u64_u32 v[35:36], null, s9, v27, v[9:10]
	ds_read_b128 v[19:22], v230 offset:880
	ds_read_b128 v[27:30], v230 offset:13200
	v_fma_f64 v[51:52], v[53:54], v[4:5], v[10:11]
	v_fma_f64 v[53:54], v[53:54], v[6:7], -v[43:44]
	v_mov_b32_e32 v13, v18
	v_mul_f64 v[14:15], v[14:15], s[0:1]
	v_mov_b32_e32 v9, v35
	ds_read_b128 v[35:38], v230 offset:9680
	s_clause 0x3
	buffer_load_dword v75, off, s[40:43], 0 offset:212
	buffer_load_dword v76, off, s[40:43], 0 offset:216
	;; [unrolled: 1-line block ×4, first 2 shown]
	ds_read_b128 v[39:42], v230 offset:22000
	ds_read_b128 v[4:7], v230 offset:12320
	s_clause 0x3
	buffer_load_dword v69, off, s[40:43], 0 offset:180
	buffer_load_dword v70, off, s[40:43], 0 offset:184
	;; [unrolled: 1-line block ×4, first 2 shown]
	v_lshlrev_b64 v[12:13], 4, v[12:13]
	v_mul_f64 v[16:17], v[16:17], s[0:1]
	v_add_co_u32 v18, vcc_lo, s2, v12
	v_add_co_ci_u32_e32 v45, vcc_lo, s3, v13, vcc_lo
	v_lshlrev_b64 v[12:13], 4, v[8:9]
	ds_read_b128 v[8:11], v230 offset:18480
	s_mul_i32 s2, s9, 0x1130
	s_mul_hi_u32 s3, s8, 0x1130
	s_add_i32 s2, s3, s2
	v_add_co_u32 v63, vcc_lo, v18, v12
	v_add_co_ci_u32_e32 v64, vcc_lo, v45, v13, vcc_lo
	s_mul_i32 s3, s8, 0x1130
	s_waitcnt vmcnt(4) lgkmcnt(6)
	v_mul_f64 v[47:48], v[77:78], v[2:3]
	v_mul_f64 v[49:50], v[77:78], v[0:1]
	s_waitcnt vmcnt(0) lgkmcnt(4)
	v_mul_f64 v[55:56], v[71:72], v[29:30]
	v_mul_f64 v[57:58], v[71:72], v[27:28]
	s_clause 0x3
	buffer_load_dword v71, off, s[40:43], 0 offset:196
	buffer_load_dword v72, off, s[40:43], 0 offset:200
	;; [unrolled: 1-line block ×4, first 2 shown]
	ds_read_b128 v[43:46], v230 offset:21120
	s_clause 0x3
	buffer_load_dword v77, off, s[40:43], 0 offset:228
	buffer_load_dword v78, off, s[40:43], 0 offset:232
	;; [unrolled: 1-line block ×4, first 2 shown]
	global_store_dwordx4 v[63:64], v[14:17], off
	ds_read_b128 v[12:15], v230 offset:26400
	v_add_co_u32 v63, vcc_lo, v63, s3
	v_add_co_ci_u32_e32 v64, vcc_lo, s2, v64, vcc_lo
	v_fma_f64 v[47:48], v[75:76], v[0:1], v[47:48]
	v_fma_f64 v[49:50], v[75:76], v[2:3], -v[49:50]
	v_mul_f64 v[0:1], v[51:52], s[0:1]
	v_mul_f64 v[2:3], v[53:54], s[0:1]
	v_fma_f64 v[16:17], v[69:70], v[27:28], v[55:56]
	v_fma_f64 v[51:52], v[69:70], v[29:30], -v[57:58]
	v_add_co_u32 v69, vcc_lo, v63, s3
	v_add_co_ci_u32_e32 v70, vcc_lo, s2, v64, vcc_lo
	v_mul_f64 v[27:28], v[47:48], s[0:1]
	v_mul_f64 v[29:30], v[49:50], s[0:1]
	;; [unrolled: 1-line block ×4, first 2 shown]
	s_waitcnt vmcnt(4)
	v_mul_f64 v[59:60], v[73:74], v[33:34]
	v_mul_f64 v[61:62], v[73:74], v[31:32]
	s_waitcnt vmcnt(0) lgkmcnt(4)
	v_mul_f64 v[65:66], v[79:80], v[41:42]
	v_mul_f64 v[67:68], v[79:80], v[39:40]
	v_fma_f64 v[53:54], v[71:72], v[31:32], v[59:60]
	v_fma_f64 v[55:56], v[71:72], v[33:34], -v[61:62]
	v_fma_f64 v[57:58], v[77:78], v[39:40], v[65:66]
	v_fma_f64 v[59:60], v[77:78], v[41:42], -v[67:68]
	ds_read_b128 v[31:34], v230 offset:5280
	ds_read_b128 v[39:42], v230 offset:27280
	s_clause 0x7
	buffer_load_dword v83, off, s[40:43], 0 offset:164
	buffer_load_dword v84, off, s[40:43], 0 offset:168
	;; [unrolled: 1-line block ×8, first 2 shown]
	v_add_co_u32 v71, vcc_lo, v69, s3
	v_add_co_ci_u32_e32 v72, vcc_lo, s2, v70, vcc_lo
	v_mul_f64 v[51:52], v[53:54], s[0:1]
	v_mul_f64 v[53:54], v[55:56], s[0:1]
	;; [unrolled: 1-line block ×4, first 2 shown]
	ds_read_b128 v[59:62], v230 offset:6160
	s_waitcnt vmcnt(4) lgkmcnt(3)
	v_mul_f64 v[65:66], v[85:86], v[14:15]
	v_mul_f64 v[67:68], v[85:86], v[12:13]
	s_waitcnt vmcnt(0)
	v_mul_f64 v[16:17], v[91:92], v[21:22]
	v_mul_f64 v[73:74], v[91:92], v[19:20]
	s_clause 0x7
	buffer_load_dword v85, off, s[40:43], 0 offset:260
	buffer_load_dword v86, off, s[40:43], 0 offset:264
	;; [unrolled: 1-line block ×8, first 2 shown]
	global_store_dwordx4 v[63:64], v[0:3], off
	v_add_co_u32 v63, vcc_lo, v71, s3
	v_add_co_ci_u32_e32 v64, vcc_lo, s2, v72, vcc_lo
	ds_read_b128 v[0:3], v230 offset:14080
	global_store_dwordx4 v[69:70], v[27:30], off
	v_fma_f64 v[12:13], v[83:84], v[12:13], v[65:66]
	v_fma_f64 v[14:15], v[83:84], v[14:15], -v[67:68]
	v_add_co_u32 v67, vcc_lo, v63, s3
	v_add_co_ci_u32_e32 v68, vcc_lo, s2, v64, vcc_lo
	global_store_dwordx4 v[71:72], v[47:50], off
	global_store_dwordx4 v[63:64], v[51:54], off
	;; [unrolled: 1-line block ×3, first 2 shown]
	v_fma_f64 v[65:66], v[89:90], v[19:20], v[16:17]
	ds_read_b128 v[16:19], v230 offset:22880
	v_fma_f64 v[20:21], v[89:90], v[21:22], -v[73:74]
	v_add_co_u32 v55, vcc_lo, v67, s3
	v_add_co_ci_u32_e32 v56, vcc_lo, s2, v68, vcc_lo
	v_mul_f64 v[12:13], v[12:13], s[0:1]
	v_mul_f64 v[14:15], v[14:15], s[0:1]
	;; [unrolled: 1-line block ×4, first 2 shown]
	s_waitcnt vmcnt(4) lgkmcnt(4)
	v_mul_f64 v[75:76], v[87:88], v[33:34]
	v_mul_f64 v[77:78], v[87:88], v[31:32]
	s_waitcnt vmcnt(0)
	v_mul_f64 v[79:80], v[93:94], v[37:38]
	v_mul_f64 v[81:82], v[93:94], v[35:36]
	v_fma_f64 v[47:48], v[85:86], v[31:32], v[75:76]
	v_fma_f64 v[49:50], v[85:86], v[33:34], -v[77:78]
	ds_read_b128 v[31:34], v230 offset:14960
	v_fma_f64 v[51:52], v[91:92], v[35:36], v[79:80]
	v_fma_f64 v[53:54], v[91:92], v[37:38], -v[81:82]
	s_clause 0x7
	buffer_load_dword v77, off, s[40:43], 0 offset:244
	buffer_load_dword v78, off, s[40:43], 0 offset:248
	;; [unrolled: 1-line block ×8, first 2 shown]
	v_add_co_u32 v75, vcc_lo, v55, s5
	v_add_co_ci_u32_e32 v76, vcc_lo, s4, v56, vcc_lo
	v_mul_f64 v[35:36], v[47:48], s[0:1]
	v_mul_f64 v[37:38], v[49:50], s[0:1]
	;; [unrolled: 1-line block ×4, first 2 shown]
	ds_read_b128 v[51:54], v230 offset:23760
	s_waitcnt vmcnt(4) lgkmcnt(3)
	v_mul_f64 v[57:58], v[79:80], v[2:3]
	s_waitcnt vmcnt(0)
	v_mul_f64 v[20:21], v[83:84], v[10:11]
	v_mul_f64 v[65:66], v[83:84], v[8:9]
	s_clause 0x3
	buffer_load_dword v83, off, s[40:43], 0 offset:364
	buffer_load_dword v84, off, s[40:43], 0 offset:368
	;; [unrolled: 1-line block ×4, first 2 shown]
	v_mul_f64 v[63:64], v[79:80], v[0:1]
	v_fma_f64 v[57:58], v[77:78], v[0:1], v[57:58]
	v_fma_f64 v[20:21], v[81:82], v[8:9], v[20:21]
	v_fma_f64 v[65:66], v[81:82], v[10:11], -v[65:66]
	v_fma_f64 v[63:64], v[77:78], v[2:3], -v[63:64]
	v_add_co_u32 v77, vcc_lo, v75, s3
	v_add_co_ci_u32_e32 v78, vcc_lo, s2, v76, vcc_lo
	v_add_co_u32 v79, vcc_lo, v77, s3
	v_add_co_ci_u32_e32 v80, vcc_lo, s2, v78, vcc_lo
	s_waitcnt vmcnt(0) lgkmcnt(2)
	v_mul_f64 v[67:68], v[85:86], v[18:19]
	v_mul_f64 v[69:70], v[85:86], v[16:17]
	s_clause 0x3
	buffer_load_dword v85, off, s[40:43], 0 offset:396
	buffer_load_dword v86, off, s[40:43], 0 offset:400
	;; [unrolled: 1-line block ×4, first 2 shown]
	ds_read_b128 v[0:3], v230 offset:1760
	global_store_dwordx4 v[55:56], v[12:15], off
	global_store_dwordx4 v[75:76], v[27:30], off
	;; [unrolled: 1-line block ×4, first 2 shown]
	ds_read_b128 v[8:11], v230 offset:2640
	v_mul_f64 v[14:15], v[63:64], s[0:1]
	v_add_co_u32 v63, vcc_lo, v79, s3
	v_add_co_ci_u32_e32 v64, vcc_lo, s2, v80, vcc_lo
	v_mul_f64 v[12:13], v[57:58], s[0:1]
	v_mul_f64 v[27:28], v[20:21], s[0:1]
	;; [unrolled: 1-line block ×3, first 2 shown]
	v_add_co_u32 v65, vcc_lo, v63, s3
	v_add_co_ci_u32_e32 v66, vcc_lo, s2, v64, vcc_lo
	v_add_co_u32 v77, vcc_lo, v65, s3
	v_add_co_ci_u32_e32 v78, vcc_lo, s2, v66, vcc_lo
	v_fma_f64 v[47:48], v[83:84], v[16:17], v[67:68]
	v_fma_f64 v[49:50], v[83:84], v[18:19], -v[69:70]
	v_add_co_u32 v83, vcc_lo, v77, s3
	v_add_co_ci_u32_e32 v84, vcc_lo, s2, v78, vcc_lo
	s_waitcnt vmcnt(0)
	v_mul_f64 v[73:74], v[87:88], v[39:40]
	v_mul_f64 v[71:72], v[87:88], v[41:42]
	v_fma_f64 v[67:68], v[85:86], v[41:42], -v[73:74]
	s_clause 0x3
	buffer_load_dword v73, off, s[40:43], 0 offset:380
	buffer_load_dword v74, off, s[40:43], 0 offset:384
	;; [unrolled: 1-line block ×4, first 2 shown]
	v_fma_f64 v[55:56], v[85:86], v[39:40], v[71:72]
	ds_read_b128 v[16:19], v230 offset:10560
	s_clause 0x3
	buffer_load_dword v79, off, s[40:43], 0 offset:412
	buffer_load_dword v80, off, s[40:43], 0 offset:416
	;; [unrolled: 1-line block ×4, first 2 shown]
	ds_read_b128 v[35:38], v230 offset:19360
	v_mul_f64 v[41:42], v[49:50], s[0:1]
	v_mul_f64 v[39:40], v[47:48], s[0:1]
	;; [unrolled: 1-line block ×4, first 2 shown]
	s_waitcnt vmcnt(4) lgkmcnt(3)
	v_mul_f64 v[69:70], v[75:76], v[2:3]
	v_mul_f64 v[71:72], v[75:76], v[0:1]
	s_waitcnt vmcnt(0)
	v_mul_f64 v[20:21], v[81:82], v[61:62]
	v_mul_f64 v[57:58], v[81:82], v[59:60]
	v_fma_f64 v[67:68], v[73:74], v[0:1], v[69:70]
	v_fma_f64 v[69:70], v[73:74], v[2:3], -v[71:72]
	ds_read_b128 v[0:3], v230 offset:11440
	s_clause 0x3
	buffer_load_dword v85, off, s[40:43], 0 offset:428
	buffer_load_dword v86, off, s[40:43], 0 offset:432
	;; [unrolled: 1-line block ×4, first 2 shown]
	v_fma_f64 v[20:21], v[79:80], v[59:60], v[20:21]
	v_fma_f64 v[59:60], v[79:80], v[61:62], -v[57:58]
	s_waitcnt vmcnt(0) lgkmcnt(2)
	v_mul_f64 v[71:72], v[87:88], v[18:19]
	v_mul_f64 v[73:74], v[87:88], v[16:17]
	s_clause 0x3
	buffer_load_dword v87, off, s[40:43], 0 offset:476
	buffer_load_dword v88, off, s[40:43], 0 offset:480
	;; [unrolled: 1-line block ×4, first 2 shown]
	ds_read_b128 v[55:58], v230 offset:20240
	s_waitcnt vmcnt(0)
	v_mul_f64 v[75:76], v[89:90], v[33:34]
	v_mul_f64 v[61:62], v[89:90], v[31:32]
	s_clause 0x3
	buffer_load_dword v89, off, s[40:43], 0 offset:492
	buffer_load_dword v90, off, s[40:43], 0 offset:496
	;; [unrolled: 1-line block ×4, first 2 shown]
	global_store_dwordx4 v[63:64], v[12:15], off
	global_store_dwordx4 v[65:66], v[27:30], off
	v_mul_f64 v[27:28], v[67:68], s[0:1]
	v_add_co_u32 v67, vcc_lo, v83, s5
	ds_read_b128 v[12:15], v230 offset:28160
	global_store_dwordx4 v[77:78], v[39:42], off
	global_store_dwordx4 v[83:84], v[47:50], off
	v_fma_f64 v[39:40], v[85:86], v[16:17], v[71:72]
	v_fma_f64 v[41:42], v[85:86], v[18:19], -v[73:74]
	v_add_co_ci_u32_e32 v68, vcc_lo, s4, v84, vcc_lo
	s_clause 0x3
	buffer_load_dword v83, off, s[40:43], 0 offset:444
	buffer_load_dword v84, off, s[40:43], 0 offset:448
	;; [unrolled: 1-line block ×4, first 2 shown]
	v_mul_f64 v[29:30], v[69:70], s[0:1]
	v_mul_f64 v[16:17], v[20:21], s[0:1]
	;; [unrolled: 1-line block ×3, first 2 shown]
	v_add_co_u32 v77, vcc_lo, v67, s3
	v_add_co_ci_u32_e32 v78, vcc_lo, s2, v68, vcc_lo
	v_fma_f64 v[47:48], v[87:88], v[31:32], v[75:76]
	v_fma_f64 v[61:62], v[87:88], v[33:34], -v[61:62]
	ds_read_b128 v[31:34], v230 offset:29040
	s_waitcnt vmcnt(4) lgkmcnt(4)
	v_mul_f64 v[79:80], v[91:92], v[37:38]
	v_mul_f64 v[81:82], v[91:92], v[35:36]
	s_waitcnt vmcnt(0)
	v_mul_f64 v[69:70], v[85:86], v[53:54]
	v_mul_f64 v[71:72], v[85:86], v[51:52]
	s_clause 0x3
	buffer_load_dword v85, off, s[40:43], 0 offset:460
	buffer_load_dword v86, off, s[40:43], 0 offset:464
	;; [unrolled: 1-line block ×4, first 2 shown]
	v_fma_f64 v[20:21], v[89:90], v[35:36], v[79:80]
	v_fma_f64 v[65:66], v[89:90], v[37:38], -v[81:82]
	v_mul_f64 v[35:36], v[39:40], s[0:1]
	v_mul_f64 v[37:38], v[41:42], s[0:1]
	;; [unrolled: 1-line block ×3, first 2 shown]
	ds_read_b128 v[47:50], v230 offset:7040
	v_mul_f64 v[41:42], v[61:62], s[0:1]
	ds_read_b128 v[59:62], v230 offset:15840
	s_clause 0x3
	buffer_load_dword v99, off, s[40:43], 0 offset:540
	buffer_load_dword v100, off, s[40:43], 0 offset:544
	;; [unrolled: 1-line block ×4, first 2 shown]
	v_add_co_u32 v79, vcc_lo, v77, s3
	v_add_co_ci_u32_e32 v80, vcc_lo, s2, v78, vcc_lo
	v_add_co_u32 v81, vcc_lo, v79, s3
	v_add_co_ci_u32_e32 v82, vcc_lo, s2, v80, vcc_lo
	v_mul_f64 v[63:64], v[20:21], s[0:1]
	v_fma_f64 v[20:21], v[83:84], v[51:52], v[69:70]
	v_fma_f64 v[69:70], v[83:84], v[53:54], -v[71:72]
	v_mul_f64 v[65:66], v[65:66], s[0:1]
	s_waitcnt vmcnt(4) lgkmcnt(3)
	v_mul_f64 v[73:74], v[87:88], v[14:15]
	v_mul_f64 v[75:76], v[87:88], v[12:13]
	s_waitcnt vmcnt(0)
	v_mul_f64 v[83:84], v[101:102], v[8:9]
	v_fma_f64 v[71:72], v[85:86], v[12:13], v[73:74]
	v_fma_f64 v[73:74], v[85:86], v[14:15], -v[75:76]
	v_mul_f64 v[75:76], v[101:102], v[10:11]
	ds_read_b128 v[12:15], v230 offset:7920
	s_clause 0x3
	buffer_load_dword v101, off, s[40:43], 0 offset:556
	buffer_load_dword v102, off, s[40:43], 0 offset:560
	;; [unrolled: 1-line block ×4, first 2 shown]
	v_add_co_u32 v85, vcc_lo, v81, s3
	v_add_co_ci_u32_e32 v86, vcc_lo, s2, v82, vcc_lo
	v_fma_f64 v[10:11], v[99:100], v[10:11], -v[83:84]
	v_fma_f64 v[8:9], v[99:100], v[8:9], v[75:76]
	v_mul_f64 v[10:11], v[10:11], s[0:1]
	v_mul_f64 v[8:9], v[8:9], s[0:1]
	s_waitcnt vmcnt(0) lgkmcnt(2)
	v_mul_f64 v[87:88], v[103:104], v[49:50]
	v_mul_f64 v[89:90], v[103:104], v[47:48]
	s_clause 0x3
	buffer_load_dword v103, off, s[40:43], 0 offset:572
	buffer_load_dword v104, off, s[40:43], 0 offset:576
	;; [unrolled: 1-line block ×4, first 2 shown]
	ds_read_b128 v[51:54], v230 offset:16720
	s_waitcnt vmcnt(0)
	v_mul_f64 v[91:92], v[105:106], v[2:3]
	v_mul_f64 v[93:94], v[105:106], v[0:1]
	s_clause 0x3
	buffer_load_dword v105, off, s[40:43], 0 offset:588
	buffer_load_dword v106, off, s[40:43], 0 offset:592
	;; [unrolled: 1-line block ×4, first 2 shown]
	global_store_dwordx4 v[67:68], v[27:30], off
	global_store_dwordx4 v[77:78], v[16:19], off
	global_store_dwordx4 v[79:80], v[35:38], off
	global_store_dwordx4 v[81:82], v[39:42], off
	global_store_dwordx4 v[85:86], v[63:66], off
	v_mul_f64 v[29:30], v[73:74], s[0:1]
	ds_read_b128 v[35:38], v230 offset:24640
	s_clause 0x3
	buffer_load_dword v73, off, s[40:43], 0 offset:508
	buffer_load_dword v74, off, s[40:43], 0 offset:512
	;; [unrolled: 1-line block ×4, first 2 shown]
	v_mul_f64 v[16:17], v[20:21], s[0:1]
	v_mul_f64 v[18:19], v[69:70], s[0:1]
	;; [unrolled: 1-line block ×3, first 2 shown]
	v_fma_f64 v[39:40], v[101:102], v[47:48], v[87:88]
	v_fma_f64 v[41:42], v[101:102], v[49:50], -v[89:90]
	v_add_co_u32 v20, vcc_lo, v85, s3
	v_add_co_ci_u32_e32 v21, vcc_lo, s2, v86, vcc_lo
	v_add_co_u32 v67, vcc_lo, v20, s3
	v_add_co_ci_u32_e32 v68, vcc_lo, s2, v21, vcc_lo
	v_fma_f64 v[47:48], v[103:104], v[0:1], v[91:92]
	v_fma_f64 v[49:50], v[103:104], v[2:3], -v[93:94]
	ds_read_b128 v[0:3], v230 offset:25520
	s_waitcnt vmcnt(4) lgkmcnt(4)
	v_mul_f64 v[95:96], v[107:108], v[61:62]
	v_mul_f64 v[97:98], v[107:108], v[59:60]
	s_waitcnt vmcnt(0)
	v_mul_f64 v[63:64], v[75:76], v[57:58]
	v_mul_f64 v[65:66], v[75:76], v[55:56]
	s_clause 0x3
	buffer_load_dword v75, off, s[40:43], 0 offset:524
	buffer_load_dword v76, off, s[40:43], 0 offset:528
	;; [unrolled: 1-line block ×4, first 2 shown]
	global_store_dwordx4 v[20:21], v[16:19], off
	global_store_dwordx4 v[67:68], v[27:30], off
	v_mul_f64 v[27:28], v[47:48], s[0:1]
	v_mul_f64 v[29:30], v[49:50], s[0:1]
	v_mul_f64 v[16:17], v[39:40], s[0:1]
	v_mul_f64 v[18:19], v[41:42], s[0:1]
	v_add_co_u32 v20, vcc_lo, v67, s5
	v_add_co_ci_u32_e32 v21, vcc_lo, s4, v68, vcc_lo
	v_fma_f64 v[59:60], v[105:106], v[59:60], v[95:96]
	v_fma_f64 v[61:62], v[105:106], v[61:62], -v[97:98]
	v_fma_f64 v[47:48], v[73:74], v[55:56], v[63:64]
	v_fma_f64 v[49:50], v[73:74], v[57:58], -v[65:66]
	s_clause 0x3
	buffer_load_dword v63, off, s[40:43], 0 offset:604
	buffer_load_dword v64, off, s[40:43], 0 offset:608
	;; [unrolled: 1-line block ×4, first 2 shown]
	v_add_co_u32 v55, vcc_lo, v20, s3
	v_add_co_ci_u32_e32 v56, vcc_lo, s2, v21, vcc_lo
	global_store_dwordx4 v[20:21], v[8:11], off
	v_mul_f64 v[39:40], v[59:60], s[0:1]
	v_mul_f64 v[41:42], v[61:62], s[0:1]
	v_add_co_u32 v61, vcc_lo, v55, s3
	v_add_co_ci_u32_e32 v62, vcc_lo, s2, v56, vcc_lo
	global_store_dwordx4 v[55:56], v[16:19], off
	global_store_dwordx4 v[61:62], v[27:30], off
	v_add_co_u32 v20, vcc_lo, v61, s3
	v_add_co_ci_u32_e32 v21, vcc_lo, s2, v62, vcc_lo
	v_mul_f64 v[8:9], v[47:48], s[0:1]
	v_mul_f64 v[10:11], v[49:50], s[0:1]
	s_waitcnt vmcnt(4) lgkmcnt(1)
	v_mul_f64 v[69:70], v[77:78], v[37:38]
	v_mul_f64 v[71:72], v[77:78], v[35:36]
	s_waitcnt vmcnt(0)
	v_mul_f64 v[57:58], v[65:66], v[33:34]
	v_mul_f64 v[59:60], v[65:66], v[31:32]
	s_clause 0x3
	buffer_load_dword v65, off, s[40:43], 0 offset:636
	buffer_load_dword v66, off, s[40:43], 0 offset:640
	;; [unrolled: 1-line block ×4, first 2 shown]
	global_store_dwordx4 v[20:21], v[39:42], off
	v_fma_f64 v[35:36], v[75:76], v[35:36], v[69:70]
	v_fma_f64 v[37:38], v[75:76], v[37:38], -v[71:72]
	ds_read_b128 v[27:30], v230 offset:29920
	s_clause 0x3
	buffer_load_dword v69, off, s[40:43], 0 offset:620
	buffer_load_dword v70, off, s[40:43], 0 offset:624
	;; [unrolled: 1-line block ×4, first 2 shown]
	v_add_co_u32 v20, vcc_lo, v20, s3
	v_add_co_ci_u32_e32 v21, vcc_lo, s2, v21, vcc_lo
	v_add_co_u32 v39, vcc_lo, v20, s3
	v_add_co_ci_u32_e32 v40, vcc_lo, s2, v21, vcc_lo
	v_fma_f64 v[31:32], v[63:64], v[31:32], v[57:58]
	v_fma_f64 v[33:34], v[63:64], v[33:34], -v[59:60]
	v_mul_f64 v[16:17], v[35:36], s[0:1]
	v_mul_f64 v[18:19], v[37:38], s[0:1]
	s_waitcnt vmcnt(4)
	v_mul_f64 v[55:56], v[67:68], v[25:26]
	v_mul_f64 v[61:62], v[67:68], v[23:24]
	s_waitcnt vmcnt(0)
	v_mul_f64 v[35:36], v[71:72], v[14:15]
	v_mul_f64 v[37:38], v[71:72], v[12:13]
	s_clause 0x3
	buffer_load_dword v71, off, s[40:43], 0 offset:652
	buffer_load_dword v72, off, s[40:43], 0 offset:656
	;; [unrolled: 1-line block ×4, first 2 shown]
	v_fma_f64 v[22:23], v[65:66], v[23:24], v[55:56]
	v_fma_f64 v[24:25], v[65:66], v[25:26], -v[61:62]
	v_fma_f64 v[12:13], v[69:70], v[12:13], v[35:36]
	v_fma_f64 v[14:15], v[69:70], v[14:15], -v[37:38]
	s_waitcnt vmcnt(0)
	v_mul_f64 v[41:42], v[73:74], v[6:7]
	v_mul_f64 v[47:48], v[73:74], v[4:5]
	s_clause 0x3
	buffer_load_dword v73, off, s[40:43], 0 offset:668
	buffer_load_dword v74, off, s[40:43], 0 offset:672
	buffer_load_dword v75, off, s[40:43], 0 offset:676
	buffer_load_dword v76, off, s[40:43], 0 offset:680
	s_waitcnt vmcnt(0)
	v_mul_f64 v[49:50], v[75:76], v[53:54]
	v_mul_f64 v[55:56], v[75:76], v[51:52]
	s_clause 0x3
	buffer_load_dword v75, off, s[40:43], 0 offset:684
	buffer_load_dword v76, off, s[40:43], 0 offset:688
	buffer_load_dword v77, off, s[40:43], 0 offset:692
	buffer_load_dword v78, off, s[40:43], 0 offset:696
	;; [unrolled: 8-line block ×3, first 2 shown]
	s_waitcnt vmcnt(0) lgkmcnt(1)
	v_mul_f64 v[61:62], v[79:80], v[2:3]
	v_mul_f64 v[63:64], v[79:80], v[0:1]
	s_clause 0x3
	buffer_load_dword v79, off, s[40:43], 0 offset:716
	buffer_load_dword v80, off, s[40:43], 0 offset:720
	;; [unrolled: 1-line block ×4, first 2 shown]
	global_store_dwordx4 v[20:21], v[8:11], off
	global_store_dwordx4 v[39:40], v[16:19], off
	v_fma_f64 v[16:17], v[71:72], v[4:5], v[41:42]
	v_fma_f64 v[18:19], v[71:72], v[6:7], -v[47:48]
	v_mul_f64 v[4:5], v[22:23], s[0:1]
	v_fma_f64 v[20:21], v[73:74], v[51:52], v[49:50]
	v_fma_f64 v[22:23], v[73:74], v[53:54], -v[55:56]
	v_mul_f64 v[8:9], v[31:32], s[0:1]
	v_mul_f64 v[10:11], v[33:34], s[0:1]
	v_add_co_u32 v32, vcc_lo, v39, s3
	v_mul_f64 v[6:7], v[24:25], s[0:1]
	v_fma_f64 v[24:25], v[75:76], v[43:44], v[57:58]
	v_fma_f64 v[34:35], v[75:76], v[45:46], -v[59:60]
	v_add_co_ci_u32_e32 v33, vcc_lo, s2, v40, vcc_lo
	v_add_co_u32 v42, vcc_lo, v32, s5
	v_add_co_ci_u32_e32 v43, vcc_lo, s4, v33, vcc_lo
	v_fma_f64 v[36:37], v[77:78], v[0:1], v[61:62]
	v_fma_f64 v[38:39], v[77:78], v[2:3], -v[63:64]
	v_add_co_u32 v44, vcc_lo, v42, s3
	v_add_co_ci_u32_e32 v45, vcc_lo, s2, v43, vcc_lo
	v_mul_f64 v[0:1], v[12:13], s[0:1]
	v_mul_f64 v[2:3], v[14:15], s[0:1]
	v_add_co_u32 v46, vcc_lo, v44, s3
	v_mul_f64 v[12:13], v[16:17], s[0:1]
	v_mul_f64 v[14:15], v[18:19], s[0:1]
	v_add_co_ci_u32_e32 v47, vcc_lo, s2, v45, vcc_lo
	v_mul_f64 v[16:17], v[20:21], s[0:1]
	v_mul_f64 v[18:19], v[22:23], s[0:1]
	;; [unrolled: 1-line block ×4, first 2 shown]
	v_add_co_u32 v34, vcc_lo, v46, s3
	v_add_co_ci_u32_e32 v35, vcc_lo, s2, v47, vcc_lo
	v_mul_f64 v[24:25], v[36:37], s[0:1]
	global_store_dwordx4 v[32:33], v[8:11], off
	v_add_co_u32 v8, vcc_lo, v34, s3
	v_add_co_ci_u32_e32 v9, vcc_lo, s2, v35, vcc_lo
	global_store_dwordx4 v[42:43], v[4:7], off
	v_add_co_u32 v4, vcc_lo, v8, s3
	v_add_co_ci_u32_e32 v5, vcc_lo, s2, v9, vcc_lo
	;; [unrolled: 3-line block ×3, first 2 shown]
	s_waitcnt vmcnt(0) lgkmcnt(0)
	v_mul_f64 v[65:66], v[81:82], v[29:30]
	v_mul_f64 v[67:68], v[81:82], v[27:28]
	v_fma_f64 v[40:41], v[79:80], v[27:28], v[65:66]
	v_fma_f64 v[30:31], v[79:80], v[29:30], -v[67:68]
	v_mul_f64 v[26:27], v[38:39], s[0:1]
	v_mul_f64 v[28:29], v[40:41], s[0:1]
	;; [unrolled: 1-line block ×3, first 2 shown]
	global_store_dwordx4 v[46:47], v[12:15], off
	global_store_dwordx4 v[34:35], v[16:19], off
	;; [unrolled: 1-line block ×5, first 2 shown]
.LBB0_10:
	s_endpgm
	.section	.rodata,"a",@progbits
	.p2align	6, 0x0
	.amdhsa_kernel bluestein_single_fwd_len1925_dim1_dp_op_CI_CI
		.amdhsa_group_segment_fixed_size 30800
		.amdhsa_private_segment_fixed_size 2320
		.amdhsa_kernarg_size 104
		.amdhsa_user_sgpr_count 6
		.amdhsa_user_sgpr_private_segment_buffer 1
		.amdhsa_user_sgpr_dispatch_ptr 0
		.amdhsa_user_sgpr_queue_ptr 0
		.amdhsa_user_sgpr_kernarg_segment_ptr 1
		.amdhsa_user_sgpr_dispatch_id 0
		.amdhsa_user_sgpr_flat_scratch_init 0
		.amdhsa_user_sgpr_private_segment_size 0
		.amdhsa_wavefront_size32 1
		.amdhsa_uses_dynamic_stack 0
		.amdhsa_system_sgpr_private_segment_wavefront_offset 1
		.amdhsa_system_sgpr_workgroup_id_x 1
		.amdhsa_system_sgpr_workgroup_id_y 0
		.amdhsa_system_sgpr_workgroup_id_z 0
		.amdhsa_system_sgpr_workgroup_info 0
		.amdhsa_system_vgpr_workitem_id 0
		.amdhsa_next_free_vgpr 256
		.amdhsa_next_free_sgpr 44
		.amdhsa_reserve_vcc 1
		.amdhsa_reserve_flat_scratch 0
		.amdhsa_float_round_mode_32 0
		.amdhsa_float_round_mode_16_64 0
		.amdhsa_float_denorm_mode_32 3
		.amdhsa_float_denorm_mode_16_64 3
		.amdhsa_dx10_clamp 1
		.amdhsa_ieee_mode 1
		.amdhsa_fp16_overflow 0
		.amdhsa_workgroup_processor_mode 1
		.amdhsa_memory_ordered 1
		.amdhsa_forward_progress 0
		.amdhsa_shared_vgpr_count 0
		.amdhsa_exception_fp_ieee_invalid_op 0
		.amdhsa_exception_fp_denorm_src 0
		.amdhsa_exception_fp_ieee_div_zero 0
		.amdhsa_exception_fp_ieee_overflow 0
		.amdhsa_exception_fp_ieee_underflow 0
		.amdhsa_exception_fp_ieee_inexact 0
		.amdhsa_exception_int_div_zero 0
	.end_amdhsa_kernel
	.text
.Lfunc_end0:
	.size	bluestein_single_fwd_len1925_dim1_dp_op_CI_CI, .Lfunc_end0-bluestein_single_fwd_len1925_dim1_dp_op_CI_CI
                                        ; -- End function
	.section	.AMDGPU.csdata,"",@progbits
; Kernel info:
; codeLenInByte = 72508
; NumSgprs: 46
; NumVgprs: 256
; ScratchSize: 2320
; MemoryBound: 0
; FloatMode: 240
; IeeeMode: 1
; LDSByteSize: 30800 bytes/workgroup (compile time only)
; SGPRBlocks: 5
; VGPRBlocks: 31
; NumSGPRsForWavesPerEU: 46
; NumVGPRsForWavesPerEU: 256
; Occupancy: 2
; WaveLimiterHint : 1
; COMPUTE_PGM_RSRC2:SCRATCH_EN: 1
; COMPUTE_PGM_RSRC2:USER_SGPR: 6
; COMPUTE_PGM_RSRC2:TRAP_HANDLER: 0
; COMPUTE_PGM_RSRC2:TGID_X_EN: 1
; COMPUTE_PGM_RSRC2:TGID_Y_EN: 0
; COMPUTE_PGM_RSRC2:TGID_Z_EN: 0
; COMPUTE_PGM_RSRC2:TIDIG_COMP_CNT: 0
	.text
	.p2alignl 6, 3214868480
	.fill 48, 4, 3214868480
	.type	__hip_cuid_5ca5f70b3df7f70a,@object ; @__hip_cuid_5ca5f70b3df7f70a
	.section	.bss,"aw",@nobits
	.globl	__hip_cuid_5ca5f70b3df7f70a
__hip_cuid_5ca5f70b3df7f70a:
	.byte	0                               ; 0x0
	.size	__hip_cuid_5ca5f70b3df7f70a, 1

	.ident	"AMD clang version 19.0.0git (https://github.com/RadeonOpenCompute/llvm-project roc-6.4.0 25133 c7fe45cf4b819c5991fe208aaa96edf142730f1d)"
	.section	".note.GNU-stack","",@progbits
	.addrsig
	.addrsig_sym __hip_cuid_5ca5f70b3df7f70a
	.amdgpu_metadata
---
amdhsa.kernels:
  - .args:
      - .actual_access:  read_only
        .address_space:  global
        .offset:         0
        .size:           8
        .value_kind:     global_buffer
      - .actual_access:  read_only
        .address_space:  global
        .offset:         8
        .size:           8
        .value_kind:     global_buffer
      - .actual_access:  read_only
        .address_space:  global
        .offset:         16
        .size:           8
        .value_kind:     global_buffer
      - .actual_access:  read_only
        .address_space:  global
        .offset:         24
        .size:           8
        .value_kind:     global_buffer
      - .actual_access:  read_only
        .address_space:  global
        .offset:         32
        .size:           8
        .value_kind:     global_buffer
      - .offset:         40
        .size:           8
        .value_kind:     by_value
      - .address_space:  global
        .offset:         48
        .size:           8
        .value_kind:     global_buffer
      - .address_space:  global
        .offset:         56
        .size:           8
        .value_kind:     global_buffer
      - .address_space:  global
        .offset:         64
        .size:           8
        .value_kind:     global_buffer
      - .address_space:  global
        .offset:         72
        .size:           8
        .value_kind:     global_buffer
      - .offset:         80
        .size:           4
        .value_kind:     by_value
      - .address_space:  global
        .offset:         88
        .size:           8
        .value_kind:     global_buffer
      - .address_space:  global
        .offset:         96
        .size:           8
        .value_kind:     global_buffer
    .group_segment_fixed_size: 30800
    .kernarg_segment_align: 8
    .kernarg_segment_size: 104
    .language:       OpenCL C
    .language_version:
      - 2
      - 0
    .max_flat_workgroup_size: 55
    .name:           bluestein_single_fwd_len1925_dim1_dp_op_CI_CI
    .private_segment_fixed_size: 2320
    .sgpr_count:     46
    .sgpr_spill_count: 0
    .symbol:         bluestein_single_fwd_len1925_dim1_dp_op_CI_CI.kd
    .uniform_work_group_size: 1
    .uses_dynamic_stack: false
    .vgpr_count:     256
    .vgpr_spill_count: 650
    .wavefront_size: 32
    .workgroup_processor_mode: 1
amdhsa.target:   amdgcn-amd-amdhsa--gfx1030
amdhsa.version:
  - 1
  - 2
...

	.end_amdgpu_metadata
